;; amdgpu-corpus repo=ROCm/rocFFT kind=compiled arch=gfx1030 opt=O3
	.text
	.amdgcn_target "amdgcn-amd-amdhsa--gfx1030"
	.amdhsa_code_object_version 6
	.protected	fft_rtc_fwd_len578_factors_17_17_2_wgs_238_tpt_34_halfLds_dp_op_CI_CI_unitstride_sbrr_C2R_dirReg ; -- Begin function fft_rtc_fwd_len578_factors_17_17_2_wgs_238_tpt_34_halfLds_dp_op_CI_CI_unitstride_sbrr_C2R_dirReg
	.globl	fft_rtc_fwd_len578_factors_17_17_2_wgs_238_tpt_34_halfLds_dp_op_CI_CI_unitstride_sbrr_C2R_dirReg
	.p2align	8
	.type	fft_rtc_fwd_len578_factors_17_17_2_wgs_238_tpt_34_halfLds_dp_op_CI_CI_unitstride_sbrr_C2R_dirReg,@function
fft_rtc_fwd_len578_factors_17_17_2_wgs_238_tpt_34_halfLds_dp_op_CI_CI_unitstride_sbrr_C2R_dirReg: ; @fft_rtc_fwd_len578_factors_17_17_2_wgs_238_tpt_34_halfLds_dp_op_CI_CI_unitstride_sbrr_C2R_dirReg
; %bb.0:
	s_load_dwordx4 s[12:15], s[4:5], 0x0
	v_mul_u32_u24_e32 v1, 0x788, v0
	s_clause 0x1
	s_load_dwordx4 s[8:11], s[4:5], 0x58
	s_load_dwordx4 s[16:19], s[4:5], 0x18
	v_mov_b32_e32 v5, 0
	v_lshrrev_b32_e32 v3, 16, v1
	v_mov_b32_e32 v1, 0
	v_mov_b32_e32 v2, 0
	v_mad_u64_u32 v[3:4], null, s6, 7, v[3:4]
	v_mov_b32_e32 v4, v5
	v_mov_b32_e32 v73, v2
	;; [unrolled: 1-line block ×5, first 2 shown]
	s_waitcnt lgkmcnt(0)
	v_cmp_lt_u64_e64 s0, s[14:15], 2
	s_and_b32 vcc_lo, exec_lo, s0
	s_cbranch_vccnz .LBB0_8
; %bb.1:
	s_load_dwordx2 s[0:1], s[4:5], 0x10
	v_mov_b32_e32 v1, 0
	v_mov_b32_e32 v2, 0
	s_add_u32 s2, s18, 8
	v_mov_b32_e32 v8, v4
	s_addc_u32 s3, s19, 0
	v_mov_b32_e32 v7, v3
	v_mov_b32_e32 v73, v2
	s_add_u32 s6, s16, 8
	v_mov_b32_e32 v72, v1
	s_addc_u32 s7, s17, 0
	s_mov_b64 s[22:23], 1
	s_waitcnt lgkmcnt(0)
	s_add_u32 s20, s0, 8
	s_addc_u32 s21, s1, 0
.LBB0_2:                                ; =>This Inner Loop Header: Depth=1
	s_load_dwordx2 s[24:25], s[20:21], 0x0
                                        ; implicit-def: $vgpr76_vgpr77
	s_mov_b32 s0, exec_lo
	s_waitcnt lgkmcnt(0)
	v_or_b32_e32 v6, s25, v8
	v_cmpx_ne_u64_e32 0, v[5:6]
	s_xor_b32 s1, exec_lo, s0
	s_cbranch_execz .LBB0_4
; %bb.3:                                ;   in Loop: Header=BB0_2 Depth=1
	v_cvt_f32_u32_e32 v4, s24
	v_cvt_f32_u32_e32 v6, s25
	s_sub_u32 s0, 0, s24
	s_subb_u32 s26, 0, s25
	v_fmac_f32_e32 v4, 0x4f800000, v6
	v_rcp_f32_e32 v4, v4
	v_mul_f32_e32 v4, 0x5f7ffffc, v4
	v_mul_f32_e32 v6, 0x2f800000, v4
	v_trunc_f32_e32 v6, v6
	v_fmac_f32_e32 v4, 0xcf800000, v6
	v_cvt_u32_f32_e32 v6, v6
	v_cvt_u32_f32_e32 v4, v4
	v_mul_lo_u32 v9, s0, v6
	v_mul_hi_u32 v10, s0, v4
	v_mul_lo_u32 v11, s26, v4
	v_add_nc_u32_e32 v9, v10, v9
	v_mul_lo_u32 v10, s0, v4
	v_add_nc_u32_e32 v9, v9, v11
	v_mul_hi_u32 v11, v4, v10
	v_mul_lo_u32 v12, v4, v9
	v_mul_hi_u32 v13, v4, v9
	v_mul_hi_u32 v14, v6, v10
	v_mul_lo_u32 v10, v6, v10
	v_mul_hi_u32 v15, v6, v9
	v_mul_lo_u32 v9, v6, v9
	v_add_co_u32 v11, vcc_lo, v11, v12
	v_add_co_ci_u32_e32 v12, vcc_lo, 0, v13, vcc_lo
	v_add_co_u32 v10, vcc_lo, v11, v10
	v_add_co_ci_u32_e32 v10, vcc_lo, v12, v14, vcc_lo
	v_add_co_ci_u32_e32 v11, vcc_lo, 0, v15, vcc_lo
	v_add_co_u32 v9, vcc_lo, v10, v9
	v_add_co_ci_u32_e32 v10, vcc_lo, 0, v11, vcc_lo
	v_add_co_u32 v4, vcc_lo, v4, v9
	v_add_co_ci_u32_e32 v6, vcc_lo, v6, v10, vcc_lo
	v_mul_hi_u32 v9, s0, v4
	v_mul_lo_u32 v11, s26, v4
	v_mul_lo_u32 v10, s0, v6
	v_add_nc_u32_e32 v9, v9, v10
	v_mul_lo_u32 v10, s0, v4
	v_add_nc_u32_e32 v9, v9, v11
	v_mul_hi_u32 v11, v4, v10
	v_mul_lo_u32 v12, v4, v9
	v_mul_hi_u32 v13, v4, v9
	v_mul_hi_u32 v14, v6, v10
	v_mul_lo_u32 v10, v6, v10
	v_mul_hi_u32 v15, v6, v9
	v_mul_lo_u32 v9, v6, v9
	v_add_co_u32 v11, vcc_lo, v11, v12
	v_add_co_ci_u32_e32 v12, vcc_lo, 0, v13, vcc_lo
	v_add_co_u32 v10, vcc_lo, v11, v10
	v_add_co_ci_u32_e32 v10, vcc_lo, v12, v14, vcc_lo
	v_add_co_ci_u32_e32 v11, vcc_lo, 0, v15, vcc_lo
	v_add_co_u32 v9, vcc_lo, v10, v9
	v_add_co_ci_u32_e32 v10, vcc_lo, 0, v11, vcc_lo
	v_add_co_u32 v4, vcc_lo, v4, v9
	v_add_co_ci_u32_e32 v6, vcc_lo, v6, v10, vcc_lo
	v_mul_hi_u32 v15, v7, v4
	v_mad_u64_u32 v[11:12], null, v8, v4, 0
	v_mad_u64_u32 v[9:10], null, v7, v6, 0
	;; [unrolled: 1-line block ×3, first 2 shown]
	v_add_co_u32 v4, vcc_lo, v15, v9
	v_add_co_ci_u32_e32 v6, vcc_lo, 0, v10, vcc_lo
	v_add_co_u32 v4, vcc_lo, v4, v11
	v_add_co_ci_u32_e32 v4, vcc_lo, v6, v12, vcc_lo
	v_add_co_ci_u32_e32 v6, vcc_lo, 0, v14, vcc_lo
	v_add_co_u32 v4, vcc_lo, v4, v13
	v_add_co_ci_u32_e32 v6, vcc_lo, 0, v6, vcc_lo
	v_mul_lo_u32 v11, s25, v4
	v_mad_u64_u32 v[9:10], null, s24, v4, 0
	v_mul_lo_u32 v12, s24, v6
	v_sub_co_u32 v9, vcc_lo, v7, v9
	v_add3_u32 v10, v10, v12, v11
	v_sub_nc_u32_e32 v11, v8, v10
	v_subrev_co_ci_u32_e64 v11, s0, s25, v11, vcc_lo
	v_add_co_u32 v12, s0, v4, 2
	v_add_co_ci_u32_e64 v13, s0, 0, v6, s0
	v_sub_co_u32 v14, s0, v9, s24
	v_sub_co_ci_u32_e32 v10, vcc_lo, v8, v10, vcc_lo
	v_subrev_co_ci_u32_e64 v11, s0, 0, v11, s0
	v_cmp_le_u32_e32 vcc_lo, s24, v14
	v_cmp_eq_u32_e64 s0, s25, v10
	v_cndmask_b32_e64 v14, 0, -1, vcc_lo
	v_cmp_le_u32_e32 vcc_lo, s25, v11
	v_cndmask_b32_e64 v15, 0, -1, vcc_lo
	v_cmp_le_u32_e32 vcc_lo, s24, v9
	;; [unrolled: 2-line block ×3, first 2 shown]
	v_cndmask_b32_e64 v16, 0, -1, vcc_lo
	v_cmp_eq_u32_e32 vcc_lo, s25, v11
	v_cndmask_b32_e64 v9, v16, v9, s0
	v_cndmask_b32_e32 v11, v15, v14, vcc_lo
	v_add_co_u32 v14, vcc_lo, v4, 1
	v_add_co_ci_u32_e32 v15, vcc_lo, 0, v6, vcc_lo
	v_cmp_ne_u32_e32 vcc_lo, 0, v11
	v_cndmask_b32_e32 v10, v15, v13, vcc_lo
	v_cndmask_b32_e32 v11, v14, v12, vcc_lo
	v_cmp_ne_u32_e32 vcc_lo, 0, v9
	v_cndmask_b32_e32 v77, v6, v10, vcc_lo
	v_cndmask_b32_e32 v76, v4, v11, vcc_lo
.LBB0_4:                                ;   in Loop: Header=BB0_2 Depth=1
	s_andn2_saveexec_b32 s0, s1
	s_cbranch_execz .LBB0_6
; %bb.5:                                ;   in Loop: Header=BB0_2 Depth=1
	v_cvt_f32_u32_e32 v4, s24
	s_sub_i32 s1, 0, s24
	v_mov_b32_e32 v77, v5
	v_rcp_iflag_f32_e32 v4, v4
	v_mul_f32_e32 v4, 0x4f7ffffe, v4
	v_cvt_u32_f32_e32 v4, v4
	v_mul_lo_u32 v6, s1, v4
	v_mul_hi_u32 v6, v4, v6
	v_add_nc_u32_e32 v4, v4, v6
	v_mul_hi_u32 v4, v7, v4
	v_mul_lo_u32 v6, v4, s24
	v_add_nc_u32_e32 v9, 1, v4
	v_sub_nc_u32_e32 v6, v7, v6
	v_subrev_nc_u32_e32 v10, s24, v6
	v_cmp_le_u32_e32 vcc_lo, s24, v6
	v_cndmask_b32_e32 v6, v6, v10, vcc_lo
	v_cndmask_b32_e32 v4, v4, v9, vcc_lo
	v_cmp_le_u32_e32 vcc_lo, s24, v6
	v_add_nc_u32_e32 v9, 1, v4
	v_cndmask_b32_e32 v76, v4, v9, vcc_lo
.LBB0_6:                                ;   in Loop: Header=BB0_2 Depth=1
	s_or_b32 exec_lo, exec_lo, s0
	v_mul_lo_u32 v4, v77, s24
	v_mul_lo_u32 v6, v76, s25
	s_load_dwordx2 s[0:1], s[6:7], 0x0
	v_mad_u64_u32 v[9:10], null, v76, s24, 0
	s_load_dwordx2 s[24:25], s[2:3], 0x0
	s_add_u32 s22, s22, 1
	s_addc_u32 s23, s23, 0
	s_add_u32 s2, s2, 8
	s_addc_u32 s3, s3, 0
	s_add_u32 s6, s6, 8
	v_add3_u32 v4, v10, v6, v4
	v_sub_co_u32 v6, vcc_lo, v7, v9
	s_addc_u32 s7, s7, 0
	s_add_u32 s20, s20, 8
	v_sub_co_ci_u32_e32 v4, vcc_lo, v8, v4, vcc_lo
	s_addc_u32 s21, s21, 0
	s_waitcnt lgkmcnt(0)
	v_mul_lo_u32 v7, s0, v4
	v_mul_lo_u32 v8, s1, v6
	v_mad_u64_u32 v[1:2], null, s0, v6, v[1:2]
	v_mul_lo_u32 v4, s24, v4
	v_mul_lo_u32 v9, s25, v6
	v_mad_u64_u32 v[72:73], null, s24, v6, v[72:73]
	v_cmp_ge_u64_e64 s0, s[22:23], s[14:15]
	v_add3_u32 v2, v8, v2, v7
	v_add3_u32 v73, v9, v73, v4
	s_and_b32 vcc_lo, exec_lo, s0
	s_cbranch_vccnz .LBB0_8
; %bb.7:                                ;   in Loop: Header=BB0_2 Depth=1
	v_mov_b32_e32 v7, v76
	v_mov_b32_e32 v8, v77
	s_branch .LBB0_2
.LBB0_8:
	v_mul_hi_u32 v4, 0x24924925, v3
	s_load_dwordx2 s[0:1], s[4:5], 0x28
	v_mul_hi_u32 v6, 0x7878788, v0
	s_lshl_b64 s[4:5], s[14:15], 3
                                        ; implicit-def: $vgpr74
	s_add_u32 s2, s18, s4
	s_addc_u32 s3, s19, s5
	v_sub_nc_u32_e32 v5, v3, v4
	v_lshrrev_b32_e32 v5, 1, v5
	v_add_nc_u32_e32 v4, v5, v4
	s_waitcnt lgkmcnt(0)
	v_cmp_gt_u64_e32 vcc_lo, s[0:1], v[76:77]
	v_cmp_le_u64_e64 s0, s[0:1], v[76:77]
	v_lshrrev_b32_e32 v4, 2, v4
	v_mul_lo_u32 v4, v4, 7
	v_sub_nc_u32_e32 v3, v3, v4
                                        ; implicit-def: $vgpr4_vgpr5
	s_and_saveexec_b32 s1, s0
	s_xor_b32 s0, exec_lo, s1
; %bb.9:
	v_mul_u32_u24_e32 v1, 34, v6
	v_mov_b32_e32 v75, 0
                                        ; implicit-def: $vgpr6
	v_sub_nc_u32_e32 v74, v0, v1
                                        ; implicit-def: $vgpr0
                                        ; implicit-def: $vgpr1_vgpr2
	v_mov_b32_e32 v4, v74
	v_mov_b32_e32 v5, v75
; %bb.10:
	s_or_saveexec_b32 s1, s0
	s_load_dwordx2 s[2:3], s[2:3], 0x0
	v_mul_u32_u24_e32 v148, 0x243, v3
	v_lshlrev_b32_e32 v149, 4, v148
	s_xor_b32 exec_lo, exec_lo, s1
	s_cbranch_execz .LBB0_14
; %bb.11:
	s_add_u32 s4, s16, s4
	s_addc_u32 s5, s17, s5
	v_lshlrev_b64 v[1:2], 4, v[1:2]
	s_load_dwordx2 s[4:5], s[4:5], 0x0
	v_mov_b32_e32 v75, 0
	s_waitcnt lgkmcnt(0)
	v_mul_lo_u32 v5, s5, v76
	v_mul_lo_u32 v7, s4, v77
	v_mad_u64_u32 v[3:4], null, s4, v76, 0
	s_mov_b32 s4, exec_lo
	v_add3_u32 v4, v4, v7, v5
	v_mul_u32_u24_e32 v5, 34, v6
	v_lshlrev_b64 v[3:4], 4, v[3:4]
	v_sub_nc_u32_e32 v74, v0, v5
	v_lshlrev_b32_e32 v70, 4, v74
	v_add_co_u32 v0, s0, s8, v3
	v_add_co_ci_u32_e64 v3, s0, s9, v4, s0
	v_add_co_u32 v0, s0, v0, v1
	v_add_co_ci_u32_e64 v1, s0, v3, v2, s0
	;; [unrolled: 2-line block ×3, first 2 shown]
	s_clause 0x3
	global_load_dwordx4 v[6:9], v[2:3], off
	global_load_dwordx4 v[10:13], v[2:3], off offset:544
	global_load_dwordx4 v[14:17], v[2:3], off offset:1088
	;; [unrolled: 1-line block ×3, first 2 shown]
	v_add_co_u32 v4, s0, 0x800, v2
	v_add_co_ci_u32_e64 v5, s0, 0, v3, s0
	v_add_co_u32 v50, s0, 0x1000, v2
	v_add_co_ci_u32_e64 v51, s0, 0, v3, s0
	;; [unrolled: 2-line block ×4, first 2 shown]
	s_clause 0xc
	global_load_dwordx4 v[22:25], v[4:5], off offset:128
	global_load_dwordx4 v[26:29], v[4:5], off offset:672
	global_load_dwordx4 v[30:33], v[4:5], off offset:1216
	global_load_dwordx4 v[34:37], v[4:5], off offset:1760
	global_load_dwordx4 v[38:41], v[50:51], off offset:256
	global_load_dwordx4 v[42:45], v[50:51], off offset:800
	global_load_dwordx4 v[46:49], v[50:51], off offset:1344
	global_load_dwordx4 v[50:53], v[50:51], off offset:1888
	global_load_dwordx4 v[54:57], v[66:67], off offset:384
	global_load_dwordx4 v[58:61], v[66:67], off offset:928
	global_load_dwordx4 v[62:65], v[66:67], off offset:1472
	global_load_dwordx4 v[66:69], v[66:67], off offset:2016
	global_load_dwordx4 v[78:81], v[2:3], off offset:512
	v_mov_b32_e32 v4, v74
	v_add3_u32 v2, 0, v149, v70
	v_mov_b32_e32 v5, v75
	s_waitcnt vmcnt(16)
	ds_write_b128 v2, v[6:9]
	s_waitcnt vmcnt(15)
	ds_write_b128 v2, v[10:13] offset:544
	s_waitcnt vmcnt(14)
	ds_write_b128 v2, v[14:17] offset:1088
	;; [unrolled: 2-line block ×16, first 2 shown]
	v_cmpx_eq_u32_e32 33, v74
	s_cbranch_execz .LBB0_13
; %bb.12:
	v_add_co_u32 v0, s0, 0x2000, v0
	v_add_co_ci_u32_e64 v1, s0, 0, v1, s0
	v_mov_b32_e32 v4, 33
	v_mov_b32_e32 v5, 0
	;; [unrolled: 1-line block ×3, first 2 shown]
	global_load_dwordx4 v[6:9], v[0:1], off offset:1056
	s_waitcnt vmcnt(0)
	ds_write_b128 v2, v[6:9] offset:8720
.LBB0_13:
	s_or_b32 exec_lo, exec_lo, s4
.LBB0_14:
	s_or_b32 exec_lo, exec_lo, s1
	v_lshl_add_u32 v147, v148, 4, 0
	v_lshlrev_b32_e32 v0, 4, v74
	s_waitcnt lgkmcnt(0)
	s_barrier
	buffer_gl0_inv
	v_lshlrev_b64 v[78:79], 4, v[4:5]
	v_add_nc_u32_e32 v150, v147, v0
	v_sub_nc_u32_e32 v10, v147, v0
	s_add_u32 s1, s12, 0x2310
	s_addc_u32 s4, s13, 0
	ds_read_b64 v[6:7], v150
	ds_read_b64 v[8:9], v10 offset:9248
	s_mov_b32 s5, exec_lo
	s_waitcnt lgkmcnt(0)
	v_add_f64 v[0:1], v[6:7], v[8:9]
	v_add_f64 v[2:3], v[6:7], -v[8:9]
	v_cmpx_ne_u32_e32 0, v74
	s_xor_b32 s5, exec_lo, s5
	s_cbranch_execz .LBB0_16
; %bb.15:
	v_add_co_u32 v0, s0, s1, v78
	v_add_co_ci_u32_e64 v1, s0, s4, v79, s0
	v_add_f64 v[13:14], v[6:7], v[8:9]
	v_add_f64 v[8:9], v[6:7], -v[8:9]
	global_load_dwordx4 v[2:5], v[0:1], off
	ds_read_b64 v[0:1], v10 offset:9256
	ds_read_b64 v[11:12], v150 offset:8
	s_waitcnt lgkmcnt(0)
	v_add_f64 v[6:7], v[0:1], v[11:12]
	v_add_f64 v[0:1], v[11:12], -v[0:1]
	s_waitcnt vmcnt(0)
	v_fma_f64 v[11:12], v[8:9], v[4:5], v[13:14]
	v_fma_f64 v[13:14], -v[8:9], v[4:5], v[13:14]
	v_fma_f64 v[15:16], v[6:7], v[4:5], -v[0:1]
	v_fma_f64 v[17:18], v[6:7], v[4:5], v[0:1]
	v_fma_f64 v[0:1], -v[6:7], v[2:3], v[11:12]
	v_fma_f64 v[4:5], v[6:7], v[2:3], v[13:14]
	v_fma_f64 v[6:7], v[8:9], v[2:3], v[15:16]
	;; [unrolled: 1-line block ×3, first 2 shown]
	ds_write_b128 v10, v[4:7] offset:9248
.LBB0_16:
	s_andn2_saveexec_b32 s0, s5
	s_cbranch_execz .LBB0_18
; %bb.17:
	ds_read_b128 v[4:7], v147 offset:4624
	s_waitcnt lgkmcnt(0)
	v_add_f64 v[4:5], v[4:5], v[4:5]
	v_mul_f64 v[6:7], v[6:7], -2.0
	ds_write_b128 v147, v[4:7] offset:4624
.LBB0_18:
	s_or_b32 exec_lo, exec_lo, s0
	v_mov_b32_e32 v75, 0
	v_lshlrev_b64 v[80:81], 4, v[74:75]
	v_add_co_u32 v4, s0, s1, v80
	v_add_co_ci_u32_e64 v5, s0, s4, v81, s0
	s_clause 0x2
	global_load_dwordx4 v[6:9], v[4:5], off offset:544
	global_load_dwordx4 v[11:14], v[4:5], off offset:1088
	;; [unrolled: 1-line block ×3, first 2 shown]
	v_add_co_u32 v27, s0, 0x800, v4
	v_add_co_ci_u32_e64 v28, s0, 0, v5, s0
	ds_write_b128 v150, v[0:3]
	ds_read_b128 v[0:3], v150 offset:544
	ds_read_b128 v[19:22], v10 offset:8704
	v_cmp_gt_u32_e64 s0, 17, v74
	global_load_dwordx4 v[23:26], v[27:28], off offset:128
	s_waitcnt lgkmcnt(0)
	v_add_f64 v[29:30], v[0:1], v[19:20]
	v_add_f64 v[31:32], v[21:22], v[2:3]
	v_add_f64 v[33:34], v[0:1], -v[19:20]
	v_add_f64 v[0:1], v[2:3], -v[21:22]
	s_waitcnt vmcnt(3)
	v_fma_f64 v[2:3], v[33:34], v[8:9], v[29:30]
	v_fma_f64 v[19:20], v[31:32], v[8:9], v[0:1]
	v_fma_f64 v[21:22], -v[33:34], v[8:9], v[29:30]
	v_fma_f64 v[8:9], v[31:32], v[8:9], -v[0:1]
	v_fma_f64 v[0:1], -v[31:32], v[6:7], v[2:3]
	v_fma_f64 v[2:3], v[33:34], v[6:7], v[19:20]
	v_fma_f64 v[19:20], v[31:32], v[6:7], v[21:22]
	v_fma_f64 v[21:22], v[33:34], v[6:7], v[8:9]
	ds_write_b128 v150, v[0:3] offset:544
	ds_write_b128 v10, v[19:22] offset:8704
	ds_read_b128 v[0:3], v150 offset:1088
	ds_read_b128 v[6:9], v10 offset:8160
	global_load_dwordx4 v[19:22], v[27:28], off offset:672
	s_waitcnt lgkmcnt(0)
	v_add_f64 v[29:30], v[0:1], v[6:7]
	v_add_f64 v[31:32], v[8:9], v[2:3]
	v_add_f64 v[33:34], v[0:1], -v[6:7]
	v_add_f64 v[0:1], v[2:3], -v[8:9]
	s_waitcnt vmcnt(3)
	v_fma_f64 v[2:3], v[33:34], v[13:14], v[29:30]
	v_fma_f64 v[6:7], v[31:32], v[13:14], v[0:1]
	v_fma_f64 v[8:9], -v[33:34], v[13:14], v[29:30]
	v_fma_f64 v[13:14], v[31:32], v[13:14], -v[0:1]
	v_fma_f64 v[0:1], -v[31:32], v[11:12], v[2:3]
	v_fma_f64 v[2:3], v[33:34], v[11:12], v[6:7]
	v_fma_f64 v[6:7], v[31:32], v[11:12], v[8:9]
	v_fma_f64 v[8:9], v[33:34], v[11:12], v[13:14]
	ds_write_b128 v150, v[0:3] offset:1088
	ds_write_b128 v10, v[6:9] offset:8160
	ds_read_b128 v[0:3], v150 offset:1632
	ds_read_b128 v[6:9], v10 offset:7616
	;; [unrolled: 19-line block ×4, first 2 shown]
	s_waitcnt lgkmcnt(0)
	v_add_f64 v[23:24], v[0:1], v[6:7]
	v_add_f64 v[25:26], v[8:9], v[2:3]
	v_add_f64 v[27:28], v[0:1], -v[6:7]
	v_add_f64 v[0:1], v[2:3], -v[8:9]
	s_waitcnt vmcnt(2)
	v_fma_f64 v[2:3], v[27:28], v[21:22], v[23:24]
	v_fma_f64 v[6:7], v[25:26], v[21:22], v[0:1]
	v_fma_f64 v[8:9], -v[27:28], v[21:22], v[23:24]
	v_fma_f64 v[21:22], v[25:26], v[21:22], -v[0:1]
	v_fma_f64 v[0:1], -v[25:26], v[19:20], v[2:3]
	v_fma_f64 v[2:3], v[27:28], v[19:20], v[6:7]
	v_fma_f64 v[6:7], v[25:26], v[19:20], v[8:9]
	;; [unrolled: 1-line block ×3, first 2 shown]
	ds_write_b128 v150, v[0:3] offset:2720
	ds_write_b128 v10, v[6:9] offset:6528
	ds_read_b128 v[0:3], v150 offset:3264
	ds_read_b128 v[6:9], v10 offset:5984
	s_waitcnt lgkmcnt(0)
	v_add_f64 v[19:20], v[0:1], v[6:7]
	v_add_f64 v[21:22], v[8:9], v[2:3]
	v_add_f64 v[23:24], v[0:1], -v[6:7]
	v_add_f64 v[0:1], v[2:3], -v[8:9]
	s_waitcnt vmcnt(1)
	v_fma_f64 v[2:3], v[23:24], v[13:14], v[19:20]
	v_fma_f64 v[6:7], v[21:22], v[13:14], v[0:1]
	v_fma_f64 v[8:9], -v[23:24], v[13:14], v[19:20]
	v_fma_f64 v[13:14], v[21:22], v[13:14], -v[0:1]
	v_fma_f64 v[0:1], -v[21:22], v[11:12], v[2:3]
	v_fma_f64 v[2:3], v[23:24], v[11:12], v[6:7]
	v_fma_f64 v[6:7], v[21:22], v[11:12], v[8:9]
	;; [unrolled: 1-line block ×3, first 2 shown]
	ds_write_b128 v150, v[0:3] offset:3264
	ds_write_b128 v10, v[6:9] offset:5984
	ds_read_b128 v[0:3], v150 offset:3808
	ds_read_b128 v[6:9], v10 offset:5440
	s_waitcnt lgkmcnt(0)
	v_add_f64 v[11:12], v[0:1], v[6:7]
	v_add_f64 v[13:14], v[8:9], v[2:3]
	v_add_f64 v[19:20], v[0:1], -v[6:7]
	v_add_f64 v[0:1], v[2:3], -v[8:9]
	s_waitcnt vmcnt(0)
	v_fma_f64 v[2:3], v[19:20], v[17:18], v[11:12]
	v_fma_f64 v[6:7], v[13:14], v[17:18], v[0:1]
	v_fma_f64 v[8:9], -v[19:20], v[17:18], v[11:12]
	v_fma_f64 v[11:12], v[13:14], v[17:18], -v[0:1]
	v_fma_f64 v[0:1], -v[13:14], v[15:16], v[2:3]
	v_fma_f64 v[2:3], v[19:20], v[15:16], v[6:7]
	v_fma_f64 v[6:7], v[13:14], v[15:16], v[8:9]
	;; [unrolled: 1-line block ×3, first 2 shown]
	ds_write_b128 v150, v[0:3] offset:3808
	ds_write_b128 v10, v[6:9] offset:5440
	s_and_saveexec_b32 s4, s0
	s_cbranch_execz .LBB0_20
; %bb.19:
	v_add_co_u32 v0, s1, 0x1000, v4
	v_add_co_ci_u32_e64 v1, s1, 0, v5, s1
	global_load_dwordx4 v[0:3], v[0:1], off offset:256
	ds_read_b128 v[4:7], v150 offset:4352
	ds_read_b128 v[11:14], v10 offset:4896
	s_waitcnt lgkmcnt(0)
	v_add_f64 v[8:9], v[4:5], v[11:12]
	v_add_f64 v[15:16], v[13:14], v[6:7]
	v_add_f64 v[11:12], v[4:5], -v[11:12]
	v_add_f64 v[4:5], v[6:7], -v[13:14]
	s_waitcnt vmcnt(0)
	v_fma_f64 v[6:7], v[11:12], v[2:3], v[8:9]
	v_fma_f64 v[13:14], v[15:16], v[2:3], v[4:5]
	v_fma_f64 v[8:9], -v[11:12], v[2:3], v[8:9]
	v_fma_f64 v[17:18], v[15:16], v[2:3], -v[4:5]
	v_fma_f64 v[2:3], -v[15:16], v[0:1], v[6:7]
	v_fma_f64 v[4:5], v[11:12], v[0:1], v[13:14]
	v_fma_f64 v[6:7], v[15:16], v[0:1], v[8:9]
	;; [unrolled: 1-line block ×3, first 2 shown]
	ds_write_b128 v150, v[2:5] offset:4352
	ds_write_b128 v10, v[6:9] offset:4896
.LBB0_20:
	s_or_b32 exec_lo, exec_lo, s4
	v_lshl_add_u32 v152, v74, 4, 0
	s_waitcnt lgkmcnt(0)
	s_barrier
	buffer_gl0_inv
	v_add_nc_u32_e32 v151, v152, v149
	s_barrier
	buffer_gl0_inv
	s_mov_b32 s28, 0x5d8e7cdc
	ds_read_b128 v[4:7], v150
	ds_read_b128 v[0:3], v151 offset:544
	ds_read_b128 v[8:11], v151 offset:1088
	;; [unrolled: 1-line block ×3, first 2 shown]
	s_mov_b32 s38, 0x2a9d6da3
	s_mov_b32 s40, 0x7c9e640b
	;; [unrolled: 1-line block ×18, first 2 shown]
	s_waitcnt lgkmcnt(2)
	v_add_f64 v[16:17], v[4:5], v[0:1]
	v_add_f64 v[18:19], v[6:7], v[2:3]
	s_mov_b32 s4, 0x3259b75e
	s_mov_b32 s6, 0xc61f0d01
	;; [unrolled: 1-line block ×20, first 2 shown]
	s_waitcnt lgkmcnt(1)
	v_add_f64 v[16:17], v[16:17], v[8:9]
	v_add_f64 v[18:19], v[18:19], v[10:11]
	s_mov_b32 s44, s28
	s_mov_b32 s57, 0x3fc7851a
	;; [unrolled: 1-line block ×9, first 2 shown]
	s_waitcnt lgkmcnt(0)
	v_add_f64 v[24:25], v[16:17], v[12:13]
	v_add_f64 v[26:27], v[18:19], v[14:15]
	ds_read_b128 v[16:19], v151 offset:2176
	ds_read_b128 v[20:23], v151 offset:2720
	s_waitcnt lgkmcnt(1)
	v_add_f64 v[24:25], v[24:25], v[16:17]
	v_add_f64 v[26:27], v[26:27], v[18:19]
	s_waitcnt lgkmcnt(0)
	v_add_f64 v[32:33], v[24:25], v[20:21]
	v_add_f64 v[34:35], v[26:27], v[22:23]
	ds_read_b128 v[24:27], v151 offset:3264
	ds_read_b128 v[28:31], v151 offset:3808
	s_waitcnt lgkmcnt(1)
	v_add_f64 v[32:33], v[32:33], v[24:25]
	v_add_f64 v[34:35], v[34:35], v[26:27]
	;; [unrolled: 8-line block ×3, first 2 shown]
	v_add_f64 v[46:47], v[42:43], v[34:35]
	ds_read_b128 v[40:43], v151 offset:5440
	v_add_f64 v[64:65], v[34:35], v[38:39]
	v_add_f64 v[60:61], v[32:33], -v[36:37]
	v_add_f64 v[62:63], v[34:35], -v[38:39]
	ds_read_b128 v[32:35], v151 offset:5984
	s_waitcnt lgkmcnt(1)
	v_add_f64 v[68:69], v[28:29], v[40:41]
	v_add_f64 v[44:45], v[44:45], v[36:37]
	;; [unrolled: 1-line block ×4, first 2 shown]
	v_add_f64 v[102:103], v[28:29], -v[40:41]
	v_add_f64 v[104:105], v[30:31], -v[42:43]
	s_waitcnt lgkmcnt(0)
	v_add_f64 v[84:85], v[24:25], v[32:33]
	v_add_f64 v[82:83], v[26:27], v[34:35]
	v_add_f64 v[106:107], v[24:25], -v[32:33]
	v_add_f64 v[108:109], v[26:27], -v[34:35]
	v_mul_f64 v[167:168], v[62:63], s[34:35]
	v_add_f64 v[28:29], v[44:45], v[40:41]
	v_add_f64 v[30:31], v[46:47], v[42:43]
	;; [unrolled: 1-line block ×4, first 2 shown]
	ds_read_b128 v[24:27], v151 offset:6528
	ds_read_b128 v[28:31], v151 offset:7072
	s_waitcnt lgkmcnt(1)
	v_add_f64 v[88:89], v[20:21], v[24:25]
	v_add_f64 v[86:87], v[22:23], v[26:27]
	v_add_f64 v[110:111], v[20:21], -v[24:25]
	v_add_f64 v[112:113], v[22:23], -v[26:27]
	v_add_f64 v[20:21], v[32:33], v[24:25]
	v_add_f64 v[22:23], v[34:35], v[26:27]
	s_waitcnt lgkmcnt(0)
	v_add_f64 v[92:93], v[16:17], v[28:29]
	v_add_f64 v[90:91], v[18:19], v[30:31]
	v_add_f64 v[114:115], v[16:17], -v[28:29]
	v_add_f64 v[116:117], v[18:19], -v[30:31]
	v_add_f64 v[24:25], v[20:21], v[28:29]
	v_add_f64 v[26:27], v[22:23], v[30:31]
	ds_read_b128 v[16:19], v151 offset:7616
	ds_read_b128 v[20:23], v151 offset:8160
	s_waitcnt lgkmcnt(1)
	v_add_f64 v[96:97], v[12:13], v[16:17]
	v_add_f64 v[94:95], v[14:15], v[18:19]
	v_add_f64 v[118:119], v[12:13], -v[16:17]
	v_add_f64 v[120:121], v[14:15], -v[18:19]
	v_add_f64 v[12:13], v[24:25], v[16:17]
	v_add_f64 v[14:15], v[26:27], v[18:19]
	ds_read_b128 v[16:19], v151 offset:8704
	s_waitcnt lgkmcnt(1)
	v_add_f64 v[100:101], v[8:9], v[20:21]
	v_add_f64 v[98:99], v[10:11], v[22:23]
	v_add_f64 v[122:123], v[8:9], -v[20:21]
	v_add_f64 v[124:125], v[10:11], -v[22:23]
	s_waitcnt lgkmcnt(0)
	s_barrier
	buffer_gl0_inv
	v_add_f64 v[8:9], v[2:3], v[18:19]
	v_add_f64 v[20:21], v[12:13], v[20:21]
	;; [unrolled: 1-line block ×3, first 2 shown]
	v_add_f64 v[14:15], v[2:3], -v[18:19]
	v_add_f64 v[12:13], v[0:1], v[16:17]
	v_add_f64 v[10:11], v[0:1], -v[16:17]
	v_add_f64 v[0:1], v[20:21], v[16:17]
	v_add_f64 v[2:3], v[22:23], v[18:19]
	v_mul_f64 v[16:17], v[14:15], s[28:29]
	v_mul_f64 v[18:19], v[14:15], s[38:39]
	;; [unrolled: 1-line block ×9, first 2 shown]
	v_fma_f64 v[30:31], v[12:13], s[18:19], -v[16:17]
	v_fma_f64 v[16:17], v[12:13], s[18:19], v[16:17]
	v_fma_f64 v[32:33], v[12:13], s[16:17], -v[18:19]
	v_fma_f64 v[18:19], v[12:13], s[16:17], v[18:19]
	;; [unrolled: 2-line block ×8, first 2 shown]
	v_mul_f64 v[12:13], v[10:11], s[28:29]
	v_mul_f64 v[14:15], v[10:11], s[38:39]
	;; [unrolled: 1-line block ×7, first 2 shown]
	v_fma_f64 v[153:154], v[8:9], s[20:21], v[38:39]
	v_fma_f64 v[155:156], v[8:9], s[20:21], -v[38:39]
	v_add_f64 v[16:17], v[4:5], v[16:17]
	v_add_f64 v[163:164], v[4:5], v[32:33]
	;; [unrolled: 1-line block ×4, first 2 shown]
	v_fma_f64 v[50:51], v[8:9], s[18:19], v[12:13]
	v_fma_f64 v[12:13], v[8:9], s[18:19], -v[12:13]
	v_fma_f64 v[54:55], v[8:9], s[16:17], v[14:15]
	v_fma_f64 v[58:59], v[8:9], s[16:17], -v[14:15]
	v_fma_f64 v[132:133], v[8:9], s[8:9], -v[22:23]
	v_fma_f64 v[130:131], v[8:9], s[8:9], v[22:23]
	v_fma_f64 v[134:135], v[8:9], s[4:5], v[24:25]
	v_fma_f64 v[136:137], v[8:9], s[4:5], -v[24:25]
	v_fma_f64 v[138:139], v[8:9], s[6:7], v[26:27]
	v_fma_f64 v[140:141], v[8:9], s[6:7], -v[26:27]
	;; [unrolled: 2-line block ×4, first 2 shown]
	v_add_f64 v[10:11], v[4:5], v[30:31]
	v_add_f64 v[14:15], v[4:5], v[18:19]
	;; [unrolled: 1-line block ×7, first 2 shown]
	v_mul_f64 v[18:19], v[122:123], s[38:39]
	v_add_f64 v[159:160], v[6:7], v[50:51]
	v_add_f64 v[161:162], v[6:7], v[12:13]
	;; [unrolled: 1-line block ×10, first 2 shown]
	v_mul_f64 v[4:5], v[124:125], s[38:39]
	v_add_f64 v[24:25], v[6:7], v[130:131]
	v_add_f64 v[36:37], v[6:7], v[134:135]
	;; [unrolled: 1-line block ×11, first 2 shown]
	v_mul_f64 v[134:135], v[120:121], s[40:41]
	v_fma_f64 v[8:9], v[98:99], s[16:17], v[18:19]
	v_mul_f64 v[136:137], v[118:119], s[40:41]
	v_mul_f64 v[138:139], v[116:117], s[36:37]
	;; [unrolled: 1-line block ×8, first 2 shown]
	v_fma_f64 v[6:7], v[100:101], s[16:17], -v[4:5]
	v_fma_f64 v[4:5], v[100:101], s[16:17], v[4:5]
	v_add_f64 v[8:9], v[8:9], v[159:160]
	v_mul_f64 v[159:160], v[102:103], s[26:27]
	v_add_f64 v[6:7], v[6:7], v[10:11]
	v_fma_f64 v[10:11], v[96:97], s[8:9], -v[134:135]
	v_add_f64 v[4:5], v[4:5], v[16:17]
	v_fma_f64 v[16:17], v[98:99], s[16:17], -v[18:19]
	v_fma_f64 v[18:19], v[96:97], s[8:9], v[134:135]
	v_mul_f64 v[134:135], v[124:125], s[36:37]
	v_add_f64 v[6:7], v[10:11], v[6:7]
	v_fma_f64 v[10:11], v[94:95], s[8:9], v[136:137]
	v_add_f64 v[16:17], v[16:17], v[161:162]
	v_add_f64 v[4:5], v[18:19], v[4:5]
	v_fma_f64 v[18:19], v[94:95], s[8:9], -v[136:137]
	v_mul_f64 v[136:137], v[122:123], s[36:37]
	v_add_f64 v[8:9], v[10:11], v[8:9]
	v_fma_f64 v[10:11], v[92:93], s[4:5], -v[138:139]
	v_add_f64 v[16:17], v[18:19], v[16:17]
	v_fma_f64 v[18:19], v[92:93], s[4:5], v[138:139]
	v_mul_f64 v[138:139], v[120:121], s[24:25]
	v_add_f64 v[6:7], v[10:11], v[6:7]
	v_fma_f64 v[10:11], v[90:91], s[4:5], v[140:141]
	v_add_f64 v[4:5], v[18:19], v[4:5]
	v_fma_f64 v[18:19], v[90:91], s[4:5], -v[140:141]
	v_fma_f64 v[140:141], v[96:97], s[14:15], -v[138:139]
	v_add_f64 v[8:9], v[10:11], v[8:9]
	v_fma_f64 v[10:11], v[88:89], s[6:7], -v[142:143]
	v_add_f64 v[16:17], v[18:19], v[16:17]
	v_fma_f64 v[18:19], v[88:89], s[6:7], v[142:143]
	v_add_f64 v[6:7], v[10:11], v[6:7]
	v_fma_f64 v[10:11], v[86:87], s[6:7], v[144:145]
	v_add_f64 v[4:5], v[18:19], v[4:5]
	v_fma_f64 v[18:19], v[86:87], s[6:7], -v[144:145]
	v_add_f64 v[8:9], v[10:11], v[8:9]
	v_fma_f64 v[10:11], v[84:85], s[14:15], -v[153:154]
	v_add_f64 v[16:17], v[18:19], v[16:17]
	v_fma_f64 v[18:19], v[84:85], s[14:15], v[153:154]
	v_add_f64 v[6:7], v[10:11], v[6:7]
	v_fma_f64 v[10:11], v[82:83], s[14:15], v[155:156]
	v_add_f64 v[4:5], v[18:19], v[4:5]
	;; [unrolled: 8-line block ×3, first 2 shown]
	v_fma_f64 v[18:19], v[70:71], s[20:21], -v[159:160]
	v_add_f64 v[10:11], v[10:11], v[8:9]
	v_fma_f64 v[8:9], v[66:67], s[30:31], -v[167:168]
	v_add_f64 v[16:17], v[18:19], v[16:17]
	v_fma_f64 v[18:19], v[66:67], s[30:31], v[167:168]
	v_add_f64 v[8:9], v[8:9], v[6:7]
	v_mul_f64 v[6:7], v[60:61], s[34:35]
	v_add_f64 v[4:5], v[18:19], v[4:5]
	v_fma_f64 v[18:19], v[98:99], s[4:5], v[136:137]
	v_fma_f64 v[169:170], v[64:65], s[30:31], v[6:7]
	v_fma_f64 v[6:7], v[64:65], s[30:31], -v[6:7]
	v_add_f64 v[18:19], v[18:19], v[165:166]
	v_add_f64 v[10:11], v[169:170], v[10:11]
	;; [unrolled: 1-line block ×3, first 2 shown]
	v_fma_f64 v[16:17], v[100:101], s[4:5], -v[134:135]
	v_fma_f64 v[134:135], v[100:101], s[4:5], v[134:135]
	v_add_f64 v[16:17], v[16:17], v[163:164]
	v_add_f64 v[14:15], v[134:135], v[14:15]
	v_fma_f64 v[134:135], v[98:99], s[4:5], -v[136:137]
	v_add_f64 v[16:17], v[140:141], v[16:17]
	v_mul_f64 v[140:141], v[118:119], s[24:25]
	v_add_f64 v[12:13], v[134:135], v[12:13]
	v_fma_f64 v[134:135], v[96:97], s[14:15], v[138:139]
	v_fma_f64 v[142:143], v[94:95], s[14:15], v[140:141]
	v_add_f64 v[14:15], v[134:135], v[14:15]
	v_fma_f64 v[134:135], v[94:95], s[14:15], -v[140:141]
	v_add_f64 v[18:19], v[142:143], v[18:19]
	v_mul_f64 v[142:143], v[116:117], s[34:35]
	v_add_f64 v[12:13], v[134:135], v[12:13]
	v_fma_f64 v[144:145], v[92:93], s[30:31], -v[142:143]
	v_fma_f64 v[134:135], v[92:93], s[30:31], v[142:143]
	v_add_f64 v[16:17], v[144:145], v[16:17]
	v_mul_f64 v[144:145], v[114:115], s[34:35]
	v_add_f64 v[14:15], v[134:135], v[14:15]
	v_fma_f64 v[153:154], v[90:91], s[30:31], v[144:145]
	v_fma_f64 v[134:135], v[90:91], s[30:31], -v[144:145]
	v_add_f64 v[18:19], v[153:154], v[18:19]
	v_mul_f64 v[153:154], v[112:113], s[50:51]
	v_add_f64 v[12:13], v[134:135], v[12:13]
	v_fma_f64 v[155:156], v[88:89], s[20:21], -v[153:154]
	v_fma_f64 v[134:135], v[88:89], s[20:21], v[153:154]
	v_add_f64 v[16:17], v[155:156], v[16:17]
	v_mul_f64 v[155:156], v[110:111], s[50:51]
	v_add_f64 v[14:15], v[134:135], v[14:15]
	v_fma_f64 v[157:158], v[86:87], s[20:21], v[155:156]
	;; [unrolled: 10-line block ×4, first 2 shown]
	v_fma_f64 v[134:135], v[70:71], s[8:9], -v[163:164]
	v_add_f64 v[18:19], v[165:166], v[18:19]
	v_mul_f64 v[165:166], v[62:63], s[44:45]
	v_add_f64 v[134:135], v[134:135], v[12:13]
	v_fma_f64 v[167:168], v[66:67], s[18:19], -v[165:166]
	v_fma_f64 v[12:13], v[66:67], s[18:19], v[165:166]
	v_add_f64 v[16:17], v[167:168], v[16:17]
	v_mul_f64 v[167:168], v[60:61], s[44:45]
	v_add_f64 v[12:13], v[12:13], v[14:15]
	v_fma_f64 v[136:137], v[64:65], s[18:19], -v[167:168]
	v_fma_f64 v[169:170], v[64:65], s[18:19], v[167:168]
	v_mul_f64 v[167:168], v[62:63], s[26:27]
	v_add_f64 v[14:15], v[136:137], v[134:135]
	v_mul_f64 v[134:135], v[124:125], s[24:25]
	v_add_f64 v[18:19], v[169:170], v[18:19]
	v_mul_f64 v[169:170], v[60:61], s[26:27]
	v_fma_f64 v[136:137], v[100:101], s[14:15], -v[134:135]
	v_fma_f64 v[134:135], v[100:101], s[14:15], v[134:135]
	v_add_f64 v[26:27], v[136:137], v[26:27]
	v_mul_f64 v[136:137], v[122:123], s[24:25]
	v_add_f64 v[22:23], v[134:135], v[22:23]
	v_fma_f64 v[138:139], v[98:99], s[14:15], v[136:137]
	v_fma_f64 v[134:135], v[98:99], s[14:15], -v[136:137]
	v_fma_f64 v[136:137], v[64:65], s[20:21], -v[169:170]
	v_add_f64 v[24:25], v[138:139], v[24:25]
	v_mul_f64 v[138:139], v[120:121], s[56:57]
	v_add_f64 v[20:21], v[134:135], v[20:21]
	v_fma_f64 v[140:141], v[96:97], s[30:31], -v[138:139]
	v_fma_f64 v[134:135], v[96:97], s[30:31], v[138:139]
	v_add_f64 v[26:27], v[140:141], v[26:27]
	v_mul_f64 v[140:141], v[118:119], s[56:57]
	v_add_f64 v[22:23], v[134:135], v[22:23]
	v_fma_f64 v[142:143], v[94:95], s[30:31], v[140:141]
	v_fma_f64 v[134:135], v[94:95], s[30:31], -v[140:141]
	v_add_f64 v[24:25], v[142:143], v[24:25]
	v_mul_f64 v[142:143], v[116:117], s[48:49]
	v_add_f64 v[20:21], v[134:135], v[20:21]
	v_fma_f64 v[144:145], v[92:93], s[6:7], -v[142:143]
	v_fma_f64 v[134:135], v[92:93], s[6:7], v[142:143]
	v_add_f64 v[26:27], v[144:145], v[26:27]
	v_mul_f64 v[144:145], v[114:115], s[48:49]
	v_add_f64 v[22:23], v[134:135], v[22:23]
	v_fma_f64 v[153:154], v[90:91], s[6:7], v[144:145]
	;; [unrolled: 10-line block ×4, first 2 shown]
	v_fma_f64 v[134:135], v[82:83], s[18:19], -v[159:160]
	v_add_f64 v[24:25], v[161:162], v[24:25]
	v_mul_f64 v[161:162], v[104:105], s[36:37]
	v_add_f64 v[20:21], v[134:135], v[20:21]
	v_fma_f64 v[163:164], v[68:69], s[4:5], -v[161:162]
	v_fma_f64 v[134:135], v[68:69], s[4:5], v[161:162]
	v_add_f64 v[26:27], v[163:164], v[26:27]
	v_mul_f64 v[163:164], v[102:103], s[36:37]
	v_add_f64 v[22:23], v[134:135], v[22:23]
	v_fma_f64 v[134:135], v[70:71], s[4:5], -v[163:164]
	v_fma_f64 v[165:166], v[70:71], s[4:5], v[163:164]
	v_add_f64 v[134:135], v[134:135], v[20:21]
	v_fma_f64 v[20:21], v[66:67], s[20:21], v[167:168]
	v_add_f64 v[165:166], v[165:166], v[24:25]
	v_fma_f64 v[24:25], v[66:67], s[20:21], -v[167:168]
	v_mul_f64 v[167:168], v[62:63], s[46:47]
	v_add_f64 v[20:21], v[20:21], v[22:23]
	v_add_f64 v[22:23], v[136:137], v[134:135]
	v_mul_f64 v[134:135], v[124:125], s[34:35]
	v_add_f64 v[24:25], v[24:25], v[26:27]
	v_fma_f64 v[26:27], v[64:65], s[20:21], v[169:170]
	v_mul_f64 v[169:170], v[60:61], s[46:47]
	v_fma_f64 v[136:137], v[100:101], s[30:31], -v[134:135]
	v_fma_f64 v[134:135], v[100:101], s[30:31], v[134:135]
	v_add_f64 v[26:27], v[26:27], v[165:166]
	v_add_f64 v[38:39], v[136:137], v[38:39]
	v_mul_f64 v[136:137], v[122:123], s[34:35]
	v_add_f64 v[30:31], v[134:135], v[30:31]
	v_fma_f64 v[138:139], v[98:99], s[30:31], v[136:137]
	v_fma_f64 v[134:135], v[98:99], s[30:31], -v[136:137]
	v_fma_f64 v[136:137], v[64:65], s[16:17], -v[169:170]
	v_add_f64 v[36:37], v[138:139], v[36:37]
	v_mul_f64 v[138:139], v[120:121], s[48:49]
	v_add_f64 v[28:29], v[134:135], v[28:29]
	v_fma_f64 v[140:141], v[96:97], s[6:7], -v[138:139]
	v_fma_f64 v[134:135], v[96:97], s[6:7], v[138:139]
	v_add_f64 v[38:39], v[140:141], v[38:39]
	v_mul_f64 v[140:141], v[118:119], s[48:49]
	v_add_f64 v[30:31], v[134:135], v[30:31]
	v_fma_f64 v[142:143], v[94:95], s[6:7], v[140:141]
	v_fma_f64 v[134:135], v[94:95], s[6:7], -v[140:141]
	v_add_f64 v[36:37], v[142:143], v[36:37]
	v_mul_f64 v[142:143], v[116:117], s[44:45]
	v_add_f64 v[28:29], v[134:135], v[28:29]
	v_fma_f64 v[144:145], v[92:93], s[18:19], -v[142:143]
	v_fma_f64 v[134:135], v[92:93], s[18:19], v[142:143]
	v_add_f64 v[38:39], v[144:145], v[38:39]
	v_mul_f64 v[144:145], v[114:115], s[44:45]
	v_add_f64 v[30:31], v[134:135], v[30:31]
	v_fma_f64 v[153:154], v[90:91], s[18:19], v[144:145]
	;; [unrolled: 10-line block ×4, first 2 shown]
	v_fma_f64 v[134:135], v[82:83], s[20:21], -v[159:160]
	v_add_f64 v[36:37], v[161:162], v[36:37]
	v_mul_f64 v[161:162], v[104:105], s[52:53]
	v_add_f64 v[28:29], v[134:135], v[28:29]
	v_fma_f64 v[163:164], v[68:69], s[14:15], -v[161:162]
	v_fma_f64 v[134:135], v[68:69], s[14:15], v[161:162]
	v_add_f64 v[38:39], v[163:164], v[38:39]
	v_mul_f64 v[163:164], v[102:103], s[52:53]
	v_add_f64 v[30:31], v[134:135], v[30:31]
	v_fma_f64 v[134:135], v[70:71], s[14:15], -v[163:164]
	v_fma_f64 v[165:166], v[70:71], s[14:15], v[163:164]
	v_add_f64 v[134:135], v[134:135], v[28:29]
	v_fma_f64 v[28:29], v[66:67], s[16:17], v[167:168]
	v_add_f64 v[165:166], v[165:166], v[36:37]
	v_fma_f64 v[36:37], v[66:67], s[16:17], -v[167:168]
	v_mul_f64 v[167:168], v[62:63], s[24:25]
	v_add_f64 v[28:29], v[28:29], v[30:31]
	v_add_f64 v[30:31], v[136:137], v[134:135]
	v_mul_f64 v[134:135], v[124:125], s[50:51]
	v_add_f64 v[36:37], v[36:37], v[38:39]
	v_fma_f64 v[38:39], v[64:65], s[16:17], v[169:170]
	v_mul_f64 v[169:170], v[60:61], s[24:25]
	v_fma_f64 v[136:137], v[100:101], s[20:21], -v[134:135]
	v_fma_f64 v[134:135], v[100:101], s[20:21], v[134:135]
	v_add_f64 v[38:39], v[38:39], v[165:166]
	v_add_f64 v[34:35], v[136:137], v[34:35]
	v_mul_f64 v[136:137], v[122:123], s[50:51]
	v_add_f64 v[42:43], v[134:135], v[42:43]
	v_fma_f64 v[138:139], v[98:99], s[20:21], v[136:137]
	v_fma_f64 v[134:135], v[98:99], s[20:21], -v[136:137]
	v_fma_f64 v[136:137], v[64:65], s[14:15], -v[169:170]
	v_add_f64 v[32:33], v[138:139], v[32:33]
	v_mul_f64 v[138:139], v[120:121], s[46:47]
	v_add_f64 v[40:41], v[134:135], v[40:41]
	v_fma_f64 v[140:141], v[96:97], s[16:17], -v[138:139]
	v_fma_f64 v[134:135], v[96:97], s[16:17], v[138:139]
	v_add_f64 v[34:35], v[140:141], v[34:35]
	v_mul_f64 v[140:141], v[118:119], s[46:47]
	v_add_f64 v[42:43], v[134:135], v[42:43]
	v_fma_f64 v[142:143], v[94:95], s[16:17], v[140:141]
	v_fma_f64 v[134:135], v[94:95], s[16:17], -v[140:141]
	v_add_f64 v[32:33], v[142:143], v[32:33]
	v_mul_f64 v[142:143], v[116:117], s[40:41]
	v_add_f64 v[40:41], v[134:135], v[40:41]
	v_fma_f64 v[144:145], v[92:93], s[8:9], -v[142:143]
	v_fma_f64 v[134:135], v[92:93], s[8:9], v[142:143]
	v_add_f64 v[34:35], v[144:145], v[34:35]
	v_mul_f64 v[144:145], v[114:115], s[40:41]
	v_add_f64 v[42:43], v[134:135], v[42:43]
	v_fma_f64 v[153:154], v[90:91], s[8:9], v[144:145]
	;; [unrolled: 10-line block ×4, first 2 shown]
	v_fma_f64 v[134:135], v[82:83], s[4:5], -v[159:160]
	v_add_f64 v[32:33], v[161:162], v[32:33]
	v_mul_f64 v[161:162], v[104:105], s[28:29]
	v_add_f64 v[40:41], v[134:135], v[40:41]
	v_fma_f64 v[163:164], v[68:69], s[18:19], -v[161:162]
	v_fma_f64 v[134:135], v[68:69], s[18:19], v[161:162]
	v_add_f64 v[34:35], v[163:164], v[34:35]
	v_mul_f64 v[163:164], v[102:103], s[28:29]
	v_add_f64 v[42:43], v[134:135], v[42:43]
	v_fma_f64 v[134:135], v[70:71], s[18:19], -v[163:164]
	v_fma_f64 v[165:166], v[70:71], s[18:19], v[163:164]
	v_add_f64 v[134:135], v[134:135], v[40:41]
	v_fma_f64 v[40:41], v[66:67], s[14:15], v[167:168]
	v_add_f64 v[165:166], v[165:166], v[32:33]
	v_fma_f64 v[32:33], v[66:67], s[14:15], -v[167:168]
	v_mul_f64 v[167:168], v[62:63], s[42:43]
	v_add_f64 v[40:41], v[40:41], v[42:43]
	v_add_f64 v[42:43], v[136:137], v[134:135]
	v_mul_f64 v[134:135], v[124:125], s[48:49]
	v_add_f64 v[32:33], v[32:33], v[34:35]
	v_fma_f64 v[34:35], v[64:65], s[14:15], v[169:170]
	v_mul_f64 v[169:170], v[60:61], s[42:43]
	v_fma_f64 v[136:137], v[100:101], s[6:7], -v[134:135]
	v_fma_f64 v[134:135], v[100:101], s[6:7], v[134:135]
	v_add_f64 v[34:35], v[34:35], v[165:166]
	v_add_f64 v[46:47], v[136:137], v[46:47]
	v_mul_f64 v[136:137], v[122:123], s[48:49]
	v_add_f64 v[50:51], v[134:135], v[50:51]
	v_fma_f64 v[138:139], v[98:99], s[6:7], v[136:137]
	v_fma_f64 v[134:135], v[98:99], s[6:7], -v[136:137]
	v_fma_f64 v[136:137], v[64:65], s[8:9], -v[169:170]
	v_add_f64 v[44:45], v[138:139], v[44:45]
	v_mul_f64 v[138:139], v[120:121], s[28:29]
	v_add_f64 v[48:49], v[134:135], v[48:49]
	v_fma_f64 v[140:141], v[96:97], s[18:19], -v[138:139]
	v_fma_f64 v[134:135], v[96:97], s[18:19], v[138:139]
	v_add_f64 v[46:47], v[140:141], v[46:47]
	v_mul_f64 v[140:141], v[118:119], s[28:29]
	v_add_f64 v[50:51], v[134:135], v[50:51]
	v_fma_f64 v[142:143], v[94:95], s[18:19], v[140:141]
	v_fma_f64 v[134:135], v[94:95], s[18:19], -v[140:141]
	v_add_f64 v[44:45], v[142:143], v[44:45]
	v_mul_f64 v[142:143], v[116:117], s[26:27]
	v_add_f64 v[48:49], v[134:135], v[48:49]
	v_fma_f64 v[144:145], v[92:93], s[20:21], -v[142:143]
	v_fma_f64 v[134:135], v[92:93], s[20:21], v[142:143]
	v_add_f64 v[46:47], v[144:145], v[46:47]
	v_mul_f64 v[144:145], v[114:115], s[26:27]
	v_add_f64 v[50:51], v[134:135], v[50:51]
	v_fma_f64 v[153:154], v[90:91], s[20:21], v[144:145]
	;; [unrolled: 10-line block ×4, first 2 shown]
	v_fma_f64 v[134:135], v[82:83], s[16:17], -v[159:160]
	v_add_f64 v[44:45], v[161:162], v[44:45]
	v_mul_f64 v[161:162], v[104:105], s[34:35]
	v_add_f64 v[48:49], v[134:135], v[48:49]
	v_fma_f64 v[163:164], v[68:69], s[30:31], -v[161:162]
	v_fma_f64 v[134:135], v[68:69], s[30:31], v[161:162]
	v_add_f64 v[46:47], v[163:164], v[46:47]
	v_mul_f64 v[163:164], v[102:103], s[34:35]
	v_add_f64 v[50:51], v[134:135], v[50:51]
	v_fma_f64 v[134:135], v[70:71], s[30:31], -v[163:164]
	v_fma_f64 v[165:166], v[70:71], s[30:31], v[163:164]
	v_add_f64 v[134:135], v[134:135], v[48:49]
	v_fma_f64 v[48:49], v[66:67], s[8:9], v[167:168]
	v_add_f64 v[165:166], v[165:166], v[44:45]
	v_fma_f64 v[44:45], v[66:67], s[8:9], -v[167:168]
	v_mul_f64 v[167:168], v[62:63], s[22:23]
	v_add_f64 v[48:49], v[48:49], v[50:51]
	v_add_f64 v[50:51], v[136:137], v[134:135]
	v_mul_f64 v[134:135], v[124:125], s[42:43]
	v_add_f64 v[44:45], v[44:45], v[46:47]
	v_fma_f64 v[46:47], v[64:65], s[8:9], v[169:170]
	v_mul_f64 v[169:170], v[60:61], s[22:23]
	v_mul_f64 v[124:125], v[124:125], s[44:45]
	v_fma_f64 v[136:137], v[100:101], s[8:9], -v[134:135]
	v_fma_f64 v[134:135], v[100:101], s[8:9], v[134:135]
	v_add_f64 v[46:47], v[46:47], v[165:166]
	v_add_f64 v[54:55], v[136:137], v[54:55]
	v_mul_f64 v[136:137], v[122:123], s[42:43]
	v_add_f64 v[58:59], v[134:135], v[58:59]
	v_mul_f64 v[122:123], v[122:123], s[44:45]
	v_fma_f64 v[138:139], v[98:99], s[8:9], v[136:137]
	v_fma_f64 v[134:135], v[98:99], s[8:9], -v[136:137]
	v_fma_f64 v[136:137], v[64:65], s[6:7], -v[169:170]
	v_add_f64 v[52:53], v[138:139], v[52:53]
	v_mul_f64 v[138:139], v[120:121], s[36:37]
	v_add_f64 v[56:57], v[134:135], v[56:57]
	v_mul_f64 v[120:121], v[120:121], s[26:27]
	v_fma_f64 v[140:141], v[96:97], s[4:5], -v[138:139]
	v_fma_f64 v[134:135], v[96:97], s[4:5], v[138:139]
	v_add_f64 v[54:55], v[140:141], v[54:55]
	v_mul_f64 v[140:141], v[118:119], s[36:37]
	v_add_f64 v[58:59], v[134:135], v[58:59]
	v_mul_f64 v[118:119], v[118:119], s[26:27]
	v_fma_f64 v[142:143], v[94:95], s[4:5], v[140:141]
	v_fma_f64 v[134:135], v[94:95], s[4:5], -v[140:141]
	v_add_f64 v[52:53], v[142:143], v[52:53]
	v_mul_f64 v[142:143], v[116:117], s[52:53]
	v_add_f64 v[56:57], v[134:135], v[56:57]
	v_mul_f64 v[116:117], v[116:117], s[46:47]
	v_fma_f64 v[144:145], v[92:93], s[14:15], -v[142:143]
	v_fma_f64 v[134:135], v[92:93], s[14:15], v[142:143]
	v_add_f64 v[54:55], v[144:145], v[54:55]
	v_mul_f64 v[144:145], v[114:115], s[52:53]
	v_add_f64 v[58:59], v[134:135], v[58:59]
	v_mul_f64 v[114:115], v[114:115], s[46:47]
	v_fma_f64 v[153:154], v[90:91], s[14:15], v[144:145]
	;; [unrolled: 12-line block ×4, first 2 shown]
	v_fma_f64 v[134:135], v[82:83], s[30:31], -v[159:160]
	v_add_f64 v[52:53], v[161:162], v[52:53]
	v_mul_f64 v[161:162], v[104:105], s[46:47]
	v_add_f64 v[56:57], v[134:135], v[56:57]
	v_mul_f64 v[104:105], v[104:105], s[22:23]
	v_fma_f64 v[163:164], v[68:69], s[16:17], -v[161:162]
	v_fma_f64 v[134:135], v[68:69], s[16:17], v[161:162]
	v_add_f64 v[54:55], v[163:164], v[54:55]
	v_mul_f64 v[163:164], v[102:103], s[46:47]
	v_add_f64 v[58:59], v[134:135], v[58:59]
	v_mul_f64 v[102:103], v[102:103], s[22:23]
	v_fma_f64 v[134:135], v[70:71], s[16:17], -v[163:164]
	v_fma_f64 v[165:166], v[70:71], s[16:17], v[163:164]
	v_add_f64 v[134:135], v[134:135], v[56:57]
	v_fma_f64 v[56:57], v[66:67], s[6:7], v[167:168]
	v_add_f64 v[165:166], v[165:166], v[52:53]
	v_fma_f64 v[52:53], v[66:67], s[6:7], -v[167:168]
	v_add_f64 v[56:57], v[56:57], v[58:59]
	v_add_f64 v[58:59], v[136:137], v[134:135]
	v_fma_f64 v[134:135], v[100:101], s[18:19], -v[124:125]
	v_fma_f64 v[100:101], v[100:101], s[18:19], v[124:125]
	v_mul_f64 v[136:137], v[60:61], s[54:55]
	v_add_f64 v[52:53], v[52:53], v[54:55]
	v_fma_f64 v[54:55], v[64:65], s[6:7], v[169:170]
	v_add_f64 v[132:133], v[134:135], v[132:133]
	v_fma_f64 v[134:135], v[98:99], s[18:19], v[122:123]
	v_fma_f64 v[98:99], v[98:99], s[18:19], -v[122:123]
	v_add_f64 v[100:101], v[100:101], v[126:127]
	v_add_f64 v[54:55], v[54:55], v[165:166]
	;; [unrolled: 1-line block ×3, first 2 shown]
	v_fma_f64 v[134:135], v[96:97], s[20:21], -v[120:121]
	v_add_f64 v[98:99], v[98:99], v[128:129]
	v_fma_f64 v[96:97], v[96:97], s[20:21], v[120:121]
	v_add_f64 v[132:133], v[134:135], v[132:133]
	v_fma_f64 v[134:135], v[94:95], s[20:21], v[118:119]
	v_fma_f64 v[94:95], v[94:95], s[20:21], -v[118:119]
	v_add_f64 v[96:97], v[96:97], v[100:101]
	v_add_f64 v[130:131], v[134:135], v[130:131]
	v_fma_f64 v[134:135], v[92:93], s[16:17], -v[116:117]
	v_add_f64 v[94:95], v[94:95], v[98:99]
	v_fma_f64 v[92:93], v[92:93], s[16:17], v[116:117]
	v_add_f64 v[132:133], v[134:135], v[132:133]
	v_fma_f64 v[134:135], v[90:91], s[16:17], v[114:115]
	v_fma_f64 v[90:91], v[90:91], s[16:17], -v[114:115]
	v_add_f64 v[92:93], v[92:93], v[96:97]
	v_add_f64 v[130:131], v[134:135], v[130:131]
	;; [unrolled: 8-line block ×5, first 2 shown]
	v_mul_f64 v[134:135], v[62:63], s[54:55]
	v_fma_f64 v[62:63], v[64:65], s[4:5], v[136:137]
	v_add_f64 v[70:71], v[70:71], v[82:83]
	v_fma_f64 v[64:65], v[64:65], s[4:5], -v[136:137]
	v_subrev_nc_u32_e32 v82, 17, v74
	v_fma_f64 v[60:61], v[66:67], s[4:5], -v[134:135]
	v_fma_f64 v[66:67], v[66:67], s[4:5], v[134:135]
	v_add_f64 v[62:63], v[62:63], v[130:131]
	v_add_f64 v[60:61], v[60:61], v[132:133]
	;; [unrolled: 1-line block ×4, first 2 shown]
	v_mul_u32_u24_e32 v64, 0x110, v74
	v_mov_b32_e32 v65, v75
	v_add3_u32 v70, 0, v64, v149
	ds_write_b128 v70, v[0:3]
	ds_write_b128 v70, v[8:11] offset:16
	ds_write_b128 v70, v[16:19] offset:32
	;; [unrolled: 1-line block ×4, first 2 shown]
	v_cndmask_b32_e64 v0, v82, v74, s0
	ds_write_b128 v70, v[32:35] offset:80
	ds_write_b128 v70, v[44:47] offset:96
	;; [unrolled: 1-line block ×7, first 2 shown]
	v_lshlrev_b32_e32 v64, 4, v0
	ds_write_b128 v70, v[40:43] offset:192
	ds_write_b128 v70, v[28:31] offset:208
	;; [unrolled: 1-line block ×5, first 2 shown]
	s_waitcnt lgkmcnt(0)
	s_barrier
	v_lshlrev_b64 v[0:1], 4, v[64:65]
	buffer_gl0_inv
	v_add_co_u32 v44, s1, s12, v0
	v_add_co_ci_u32_e64 v45, s1, s13, v1, s1
	s_clause 0x7
	global_load_dwordx4 v[0:3], v[44:45], off
	global_load_dwordx4 v[4:7], v[44:45], off offset:16
	global_load_dwordx4 v[8:11], v[44:45], off offset:32
	;; [unrolled: 1-line block ×7, first 2 shown]
	ds_read_b128 v[32:35], v151 offset:544
	ds_read_b128 v[36:39], v151 offset:1088
	;; [unrolled: 1-line block ×3, first 2 shown]
	v_cmp_lt_u32_e64 s1, 16, v74
	s_waitcnt vmcnt(7) lgkmcnt(2)
	v_mul_f64 v[46:47], v[34:35], v[2:3]
	v_mul_f64 v[48:49], v[32:33], v[2:3]
	v_fma_f64 v[2:3], v[32:33], v[0:1], -v[46:47]
	s_waitcnt vmcnt(6) lgkmcnt(1)
	v_mul_f64 v[32:33], v[38:39], v[6:7]
	v_mul_f64 v[6:7], v[36:37], v[6:7]
	s_waitcnt vmcnt(5) lgkmcnt(0)
	v_mul_f64 v[46:47], v[42:43], v[10:11]
	v_mul_f64 v[10:11], v[40:41], v[10:11]
	v_fma_f64 v[0:1], v[34:35], v[0:1], v[48:49]
	v_fma_f64 v[65:66], v[36:37], v[4:5], -v[32:33]
	v_fma_f64 v[91:92], v[38:39], v[4:5], v[6:7]
	ds_read_b128 v[4:7], v151 offset:2176
	ds_read_b128 v[32:35], v151 offset:2720
	v_fma_f64 v[69:70], v[40:41], v[8:9], -v[46:47]
	v_fma_f64 v[67:68], v[42:43], v[8:9], v[10:11]
	s_waitcnt vmcnt(4) lgkmcnt(1)
	v_mul_f64 v[8:9], v[6:7], v[14:15]
	v_mul_f64 v[10:11], v[4:5], v[14:15]
	s_waitcnt vmcnt(3) lgkmcnt(0)
	v_mul_f64 v[14:15], v[34:35], v[18:19]
	v_mul_f64 v[18:19], v[32:33], v[18:19]
	v_fma_f64 v[89:90], v[4:5], v[12:13], -v[8:9]
	v_fma_f64 v[87:88], v[6:7], v[12:13], v[10:11]
	ds_read_b128 v[4:7], v151 offset:3264
	ds_read_b128 v[8:11], v151 offset:3808
	v_fma_f64 v[105:106], v[32:33], v[16:17], -v[14:15]
	v_fma_f64 v[103:104], v[34:35], v[16:17], v[18:19]
	s_waitcnt vmcnt(2) lgkmcnt(1)
	v_mul_f64 v[12:13], v[6:7], v[22:23]
	v_mul_f64 v[14:15], v[4:5], v[22:23]
	s_waitcnt vmcnt(1) lgkmcnt(0)
	v_mul_f64 v[16:17], v[10:11], v[26:27]
	v_mul_f64 v[18:19], v[8:9], v[26:27]
	v_fma_f64 v[125:126], v[4:5], v[20:21], -v[12:13]
	v_fma_f64 v[111:112], v[6:7], v[20:21], v[14:15]
	ds_read_b128 v[4:7], v151 offset:4352
	global_load_dwordx4 v[12:15], v[44:45], off offset:128
	v_fma_f64 v[8:9], v[8:9], v[24:25], -v[16:17]
	v_fma_f64 v[127:128], v[10:11], v[24:25], v[18:19]
	ds_read_b128 v[16:19], v151 offset:4896
	s_waitcnt vmcnt(1) lgkmcnt(1)
	v_mul_f64 v[20:21], v[4:5], v[30:31]
	v_mul_f64 v[10:11], v[6:7], v[30:31]
	v_fma_f64 v[6:7], v[6:7], v[28:29], v[20:21]
	global_load_dwordx4 v[20:23], v[44:45], off offset:144
	v_fma_f64 v[4:5], v[4:5], v[28:29], -v[10:11]
	s_waitcnt vmcnt(1) lgkmcnt(0)
	v_mul_f64 v[10:11], v[18:19], v[14:15]
	v_mul_f64 v[14:15], v[16:17], v[14:15]
	v_fma_f64 v[10:11], v[16:17], v[12:13], -v[10:11]
	v_fma_f64 v[12:13], v[18:19], v[12:13], v[14:15]
	ds_read_b128 v[16:19], v151 offset:5440
	ds_read_b128 v[24:27], v151 offset:5984
	s_waitcnt vmcnt(0) lgkmcnt(1)
	v_mul_f64 v[14:15], v[18:19], v[22:23]
	v_fma_f64 v[14:15], v[16:17], v[20:21], -v[14:15]
	v_mul_f64 v[16:17], v[16:17], v[22:23]
	v_fma_f64 v[129:130], v[18:19], v[20:21], v[16:17]
	global_load_dwordx4 v[16:19], v[44:45], off offset:160
	s_waitcnt vmcnt(0) lgkmcnt(0)
	v_mul_f64 v[20:21], v[26:27], v[18:19]
	v_mul_f64 v[18:19], v[24:25], v[18:19]
	v_fma_f64 v[131:132], v[24:25], v[16:17], -v[20:21]
	v_fma_f64 v[133:134], v[26:27], v[16:17], v[18:19]
	global_load_dwordx4 v[16:19], v[44:45], off offset:176
	ds_read_b128 v[20:23], v151 offset:6528
	ds_read_b128 v[24:27], v151 offset:7072
	s_waitcnt vmcnt(0) lgkmcnt(1)
	v_mul_f64 v[28:29], v[22:23], v[18:19]
	v_mul_f64 v[18:19], v[20:21], v[18:19]
	v_fma_f64 v[107:108], v[20:21], v[16:17], -v[28:29]
	v_fma_f64 v[115:116], v[22:23], v[16:17], v[18:19]
	global_load_dwordx4 v[16:19], v[44:45], off offset:192
	s_waitcnt vmcnt(0) lgkmcnt(0)
	v_mul_f64 v[20:21], v[26:27], v[18:19]
	v_mul_f64 v[18:19], v[24:25], v[18:19]
	v_fma_f64 v[109:110], v[24:25], v[16:17], -v[20:21]
	v_fma_f64 v[117:118], v[26:27], v[16:17], v[18:19]
	global_load_dwordx4 v[16:19], v[44:45], off offset:208
	ds_read_b128 v[20:23], v151 offset:7616
	ds_read_b128 v[24:27], v151 offset:8160
	ds_read_b128 v[121:124], v150
	s_waitcnt vmcnt(0) lgkmcnt(2)
	v_mul_f64 v[28:29], v[22:23], v[18:19]
	v_mul_f64 v[18:19], v[20:21], v[18:19]
	v_fma_f64 v[93:94], v[20:21], v[16:17], -v[28:29]
	v_fma_f64 v[119:120], v[22:23], v[16:17], v[18:19]
	global_load_dwordx4 v[16:19], v[44:45], off offset:224
	s_waitcnt vmcnt(0) lgkmcnt(1)
	v_mul_f64 v[20:21], v[26:27], v[18:19]
	v_mul_f64 v[18:19], v[24:25], v[18:19]
	v_fma_f64 v[95:96], v[24:25], v[16:17], -v[20:21]
	v_fma_f64 v[97:98], v[26:27], v[16:17], v[18:19]
	global_load_dwordx4 v[16:19], v[44:45], off offset:240
	ds_read_b128 v[20:23], v151 offset:8704
	s_waitcnt vmcnt(0) lgkmcnt(0)
	s_barrier
	buffer_gl0_inv
	v_mul_f64 v[24:25], v[20:21], v[18:19]
	v_mul_f64 v[18:19], v[22:23], v[18:19]
	v_fma_f64 v[99:100], v[22:23], v[16:17], v[24:25]
	v_fma_f64 v[101:102], v[20:21], v[16:17], -v[18:19]
	v_add_f64 v[16:17], v[0:1], -v[99:100]
	v_add_f64 v[32:33], v[2:3], v[101:102]
	v_add_f64 v[83:84], v[0:1], v[99:100]
	;; [unrolled: 1-line block ×3, first 2 shown]
	v_mul_f64 v[18:19], v[16:17], s[28:29]
	v_mul_f64 v[20:21], v[16:17], s[38:39]
	;; [unrolled: 1-line block ×8, first 2 shown]
	v_add_f64 v[0:1], v[0:1], v[91:92]
	v_fma_f64 v[34:35], v[32:33], s[18:19], -v[18:19]
	v_fma_f64 v[18:19], v[32:33], s[18:19], v[18:19]
	v_fma_f64 v[36:37], v[32:33], s[16:17], -v[20:21]
	v_fma_f64 v[20:21], v[32:33], s[16:17], v[20:21]
	;; [unrolled: 2-line block ×3, first 2 shown]
	v_fma_f64 v[42:43], v[32:33], s[4:5], -v[24:25]
	v_fma_f64 v[60:61], v[32:33], s[30:31], -v[16:17]
	v_fma_f64 v[62:63], v[32:33], s[30:31], v[16:17]
	v_add_f64 v[16:17], v[2:3], -v[101:102]
	v_add_f64 v[2:3], v[121:122], v[2:3]
	v_add_f64 v[0:1], v[0:1], v[67:68]
	v_fma_f64 v[44:45], v[32:33], s[4:5], v[24:25]
	v_fma_f64 v[46:47], v[32:33], s[6:7], -v[26:27]
	v_fma_f64 v[48:49], v[32:33], s[6:7], v[26:27]
	v_fma_f64 v[50:51], v[32:33], s[14:15], -v[28:29]
	;; [unrolled: 2-line block ×3, first 2 shown]
	v_fma_f64 v[56:57], v[32:33], s[20:21], v[30:31]
	v_add_f64 v[145:146], v[121:122], v[34:35]
	v_add_f64 v[143:144], v[121:122], v[18:19]
	;; [unrolled: 1-line block ×5, first 2 shown]
	v_mul_f64 v[22:23], v[16:17], s[28:29]
	v_add_f64 v[2:3], v[2:3], v[65:66]
	v_add_f64 v[0:1], v[0:1], v[87:88]
	v_mul_f64 v[24:25], v[16:17], s[38:39]
	v_mul_f64 v[26:27], v[16:17], s[40:41]
	;; [unrolled: 1-line block ×7, first 2 shown]
	v_add_f64 v[34:35], v[121:122], v[44:45]
	v_add_f64 v[54:55], v[121:122], v[54:55]
	v_fma_f64 v[85:86], v[83:84], s[18:19], v[22:23]
	v_add_f64 v[2:3], v[2:3], v[69:70]
	v_add_f64 v[0:1], v[0:1], v[103:104]
	v_fma_f64 v[22:23], v[83:84], s[18:19], -v[22:23]
	v_fma_f64 v[113:114], v[83:84], s[16:17], v[24:25]
	v_fma_f64 v[24:25], v[83:84], s[16:17], -v[24:25]
	v_fma_f64 v[153:154], v[83:84], s[8:9], v[26:27]
	;; [unrolled: 2-line block ×7, first 2 shown]
	v_fma_f64 v[175:176], v[83:84], s[30:31], -v[16:17]
	v_add_f64 v[26:27], v[121:122], v[40:41]
	v_add_f64 v[30:31], v[121:122], v[42:43]
	;; [unrolled: 1-line block ×29, first 2 shown]
	v_add_f64 v[123:124], v[91:92], -v[97:98]
	v_add_f64 v[121:122], v[65:66], -v[95:96]
	v_add_f64 v[2:3], v[2:3], v[125:126]
	v_add_f64 v[0:1], v[0:1], v[6:7]
	v_mul_f64 v[153:154], v[123:124], s[38:39]
	v_add_f64 v[2:3], v[2:3], v[8:9]
	v_add_f64 v[0:1], v[0:1], v[12:13]
	;; [unrolled: 1-line block ×21, first 2 shown]
	v_add_f64 v[113:114], v[69:70], -v[93:94]
	v_add_f64 v[95:96], v[67:68], v[119:120]
	v_add_f64 v[119:120], v[67:68], -v[119:120]
	v_add_f64 v[91:92], v[87:88], v[117:118]
	;; [unrolled: 2-line block ×8, first 2 shown]
	v_add_f64 v[111:112], v[111:112], -v[133:134]
	v_add_f64 v[131:132], v[8:9], -v[14:15]
	v_fma_f64 v[125:126], v[101:102], s[16:17], -v[153:154]
	v_add_f64 v[133:134], v[6:7], -v[12:13]
	v_mul_f64 v[157:158], v[113:114], s[40:41]
	v_mul_f64 v[155:156], v[119:120], s[40:41]
	;; [unrolled: 1-line block ×9, first 2 shown]
	v_add_f64 v[125:126], v[125:126], v[145:146]
	v_mul_f64 v[145:146], v[121:122], s[38:39]
	v_fma_f64 v[129:130], v[97:98], s[8:9], -v[155:156]
	v_fma_f64 v[127:128], v[99:100], s[16:17], v[145:146]
	v_add_f64 v[125:126], v[129:130], v[125:126]
	v_fma_f64 v[129:130], v[95:96], s[8:9], v[157:158]
	v_add_f64 v[127:128], v[127:128], v[135:136]
	v_add_f64 v[135:136], v[4:5], -v[10:11]
	v_add_f64 v[127:128], v[129:130], v[127:128]
	v_fma_f64 v[129:130], v[93:94], s[4:5], -v[159:160]
	v_add_f64 v[125:126], v[129:130], v[125:126]
	v_fma_f64 v[129:130], v[91:92], s[4:5], v[161:162]
	v_add_f64 v[127:128], v[129:130], v[127:128]
	v_fma_f64 v[129:130], v[89:90], s[6:7], -v[163:164]
	v_add_f64 v[125:126], v[129:130], v[125:126]
	v_fma_f64 v[129:130], v[87:88], s[6:7], v[165:166]
	;; [unrolled: 4-line block ×3, first 2 shown]
	v_add_f64 v[127:128], v[129:130], v[127:128]
	v_add_f64 v[129:130], v[8:9], v[14:15]
	v_mul_f64 v[14:15], v[105:106], s[26:27]
	v_fma_f64 v[8:9], v[129:130], s[20:21], -v[14:15]
	v_fma_f64 v[14:15], v[129:130], s[20:21], v[14:15]
	v_add_f64 v[8:9], v[8:9], v[125:126]
	v_fma_f64 v[125:126], v[65:66], s[20:21], v[171:172]
	v_add_f64 v[173:174], v[125:126], v[127:128]
	v_add_f64 v[125:126], v[6:7], v[12:13]
	v_fma_f64 v[12:13], v[101:102], s[16:17], v[153:154]
	v_add_f64 v[127:128], v[4:5], v[10:11]
	v_mul_f64 v[4:5], v[133:134], s[34:35]
	v_mul_f64 v[153:154], v[117:118], s[34:35]
	v_add_f64 v[12:13], v[12:13], v[143:144]
	v_fma_f64 v[143:144], v[99:100], s[16:17], -v[145:146]
	v_fma_f64 v[6:7], v[127:128], s[30:31], -v[4:5]
	v_fma_f64 v[4:5], v[127:128], s[30:31], v[4:5]
	v_mul_f64 v[145:146], v[113:114], s[24:25]
	v_add_f64 v[141:142], v[143:144], v[141:142]
	v_fma_f64 v[143:144], v[97:98], s[8:9], v[155:156]
	v_add_f64 v[8:9], v[6:7], v[8:9]
	v_mul_f64 v[6:7], v[135:136], s[34:35]
	v_mul_f64 v[155:156], v[109:110], s[34:35]
	v_add_f64 v[12:13], v[143:144], v[12:13]
	v_fma_f64 v[143:144], v[95:96], s[8:9], -v[157:158]
	v_fma_f64 v[10:11], v[125:126], s[30:31], v[6:7]
	v_fma_f64 v[6:7], v[125:126], s[30:31], -v[6:7]
	v_mul_f64 v[157:158], v[115:116], s[50:51]
	v_add_f64 v[141:142], v[143:144], v[141:142]
	v_fma_f64 v[143:144], v[93:94], s[4:5], v[159:160]
	v_mul_f64 v[159:160], v[107:108], s[50:51]
	v_add_f64 v[10:11], v[10:11], v[173:174]
	v_add_f64 v[12:13], v[143:144], v[12:13]
	v_fma_f64 v[143:144], v[91:92], s[4:5], -v[161:162]
	v_mul_f64 v[161:162], v[111:112], s[48:49]
	v_add_f64 v[141:142], v[143:144], v[141:142]
	v_fma_f64 v[143:144], v[89:90], s[6:7], v[163:164]
	v_mul_f64 v[163:164], v[103:104], s[48:49]
	v_add_f64 v[12:13], v[143:144], v[12:13]
	v_fma_f64 v[143:144], v[87:88], s[6:7], -v[165:166]
	v_mul_f64 v[165:166], v[105:106], s[42:43]
	v_add_f64 v[141:142], v[143:144], v[141:142]
	v_fma_f64 v[143:144], v[69:70], s[14:15], v[167:168]
	v_mul_f64 v[167:168], v[131:132], s[42:43]
	v_add_f64 v[12:13], v[143:144], v[12:13]
	v_fma_f64 v[143:144], v[67:68], s[14:15], -v[169:170]
	v_mul_f64 v[169:170], v[133:134], s[44:45]
	v_add_f64 v[12:13], v[14:15], v[12:13]
	v_add_f64 v[141:142], v[143:144], v[141:142]
	v_fma_f64 v[14:15], v[65:66], s[20:21], -v[171:172]
	v_mul_f64 v[143:144], v[119:120], s[24:25]
	v_add_f64 v[4:5], v[4:5], v[12:13]
	v_mul_f64 v[12:13], v[123:124], s[36:37]
	v_add_f64 v[14:15], v[14:15], v[141:142]
	;; [unrolled: 2-line block ×3, first 2 shown]
	v_fma_f64 v[14:15], v[101:102], s[4:5], -v[12:13]
	v_fma_f64 v[12:13], v[101:102], s[4:5], v[12:13]
	v_add_f64 v[14:15], v[14:15], v[18:19]
	v_fma_f64 v[18:19], v[99:100], s[4:5], v[141:142]
	v_add_f64 v[12:13], v[12:13], v[139:140]
	v_fma_f64 v[139:140], v[99:100], s[4:5], -v[141:142]
	v_add_f64 v[16:17], v[18:19], v[16:17]
	v_fma_f64 v[18:19], v[97:98], s[14:15], -v[143:144]
	v_add_f64 v[137:138], v[139:140], v[137:138]
	v_fma_f64 v[139:140], v[97:98], s[14:15], v[143:144]
	v_add_f64 v[14:15], v[18:19], v[14:15]
	v_fma_f64 v[18:19], v[95:96], s[14:15], v[145:146]
	v_add_f64 v[12:13], v[139:140], v[12:13]
	v_fma_f64 v[139:140], v[95:96], s[14:15], -v[145:146]
	v_add_f64 v[16:17], v[18:19], v[16:17]
	v_fma_f64 v[18:19], v[93:94], s[30:31], -v[153:154]
	v_add_f64 v[137:138], v[139:140], v[137:138]
	;; [unrolled: 8-line block ×6, first 2 shown]
	v_fma_f64 v[139:140], v[127:128], s[18:19], v[169:170]
	v_mul_f64 v[169:170], v[133:134], s[26:27]
	v_add_f64 v[16:17], v[16:17], v[14:15]
	v_mul_f64 v[14:15], v[135:136], s[44:45]
	v_add_f64 v[12:13], v[139:140], v[12:13]
	v_fma_f64 v[171:172], v[125:126], s[18:19], v[14:15]
	v_fma_f64 v[14:15], v[125:126], s[18:19], -v[14:15]
	v_add_f64 v[18:19], v[171:172], v[18:19]
	v_add_f64 v[14:15], v[14:15], v[137:138]
	v_mul_f64 v[137:138], v[123:124], s[24:25]
	v_mul_f64 v[171:172], v[135:136], s[26:27]
	v_fma_f64 v[139:140], v[101:102], s[14:15], -v[137:138]
	v_fma_f64 v[137:138], v[101:102], s[14:15], v[137:138]
	v_add_f64 v[22:23], v[139:140], v[22:23]
	v_mul_f64 v[139:140], v[121:122], s[24:25]
	v_add_f64 v[26:27], v[137:138], v[26:27]
	v_fma_f64 v[141:142], v[99:100], s[14:15], v[139:140]
	v_fma_f64 v[137:138], v[99:100], s[14:15], -v[139:140]
	v_fma_f64 v[139:140], v[125:126], s[20:21], -v[171:172]
	v_add_f64 v[20:21], v[141:142], v[20:21]
	v_mul_f64 v[141:142], v[119:120], s[56:57]
	v_add_f64 v[24:25], v[137:138], v[24:25]
	v_fma_f64 v[143:144], v[97:98], s[30:31], -v[141:142]
	v_fma_f64 v[137:138], v[97:98], s[30:31], v[141:142]
	v_add_f64 v[22:23], v[143:144], v[22:23]
	v_mul_f64 v[143:144], v[113:114], s[56:57]
	v_add_f64 v[26:27], v[137:138], v[26:27]
	v_fma_f64 v[145:146], v[95:96], s[30:31], v[143:144]
	v_fma_f64 v[137:138], v[95:96], s[30:31], -v[143:144]
	v_add_f64 v[20:21], v[145:146], v[20:21]
	v_mul_f64 v[145:146], v[117:118], s[48:49]
	v_add_f64 v[24:25], v[137:138], v[24:25]
	v_fma_f64 v[153:154], v[93:94], s[6:7], -v[145:146]
	v_fma_f64 v[137:138], v[93:94], s[6:7], v[145:146]
	v_add_f64 v[22:23], v[153:154], v[22:23]
	v_mul_f64 v[153:154], v[109:110], s[48:49]
	v_add_f64 v[26:27], v[137:138], v[26:27]
	v_fma_f64 v[155:156], v[91:92], s[6:7], v[153:154]
	;; [unrolled: 10-line block ×4, first 2 shown]
	v_fma_f64 v[137:138], v[67:68], s[18:19], -v[161:162]
	v_add_f64 v[20:21], v[163:164], v[20:21]
	v_mul_f64 v[163:164], v[105:106], s[36:37]
	v_add_f64 v[24:25], v[137:138], v[24:25]
	v_fma_f64 v[165:166], v[129:130], s[4:5], -v[163:164]
	v_fma_f64 v[137:138], v[129:130], s[4:5], v[163:164]
	v_add_f64 v[22:23], v[165:166], v[22:23]
	v_mul_f64 v[165:166], v[131:132], s[36:37]
	v_add_f64 v[26:27], v[137:138], v[26:27]
	v_fma_f64 v[137:138], v[65:66], s[4:5], -v[165:166]
	v_fma_f64 v[167:168], v[65:66], s[4:5], v[165:166]
	v_add_f64 v[137:138], v[137:138], v[24:25]
	v_fma_f64 v[24:25], v[127:128], s[20:21], v[169:170]
	v_add_f64 v[167:168], v[167:168], v[20:21]
	v_fma_f64 v[20:21], v[127:128], s[20:21], -v[169:170]
	v_mul_f64 v[169:170], v[133:134], s[46:47]
	v_add_f64 v[24:25], v[24:25], v[26:27]
	v_add_f64 v[26:27], v[139:140], v[137:138]
	v_mul_f64 v[137:138], v[123:124], s[34:35]
	v_add_f64 v[20:21], v[20:21], v[22:23]
	v_fma_f64 v[22:23], v[125:126], s[20:21], v[171:172]
	v_mul_f64 v[171:172], v[135:136], s[46:47]
	v_fma_f64 v[139:140], v[101:102], s[30:31], -v[137:138]
	v_fma_f64 v[137:138], v[101:102], s[30:31], v[137:138]
	v_add_f64 v[22:23], v[22:23], v[167:168]
	v_add_f64 v[30:31], v[139:140], v[30:31]
	v_mul_f64 v[139:140], v[121:122], s[34:35]
	v_add_f64 v[34:35], v[137:138], v[34:35]
	v_fma_f64 v[141:142], v[99:100], s[30:31], v[139:140]
	v_fma_f64 v[137:138], v[99:100], s[30:31], -v[139:140]
	v_fma_f64 v[139:140], v[125:126], s[16:17], -v[171:172]
	v_add_f64 v[28:29], v[141:142], v[28:29]
	v_mul_f64 v[141:142], v[119:120], s[48:49]
	v_add_f64 v[32:33], v[137:138], v[32:33]
	v_fma_f64 v[143:144], v[97:98], s[6:7], -v[141:142]
	v_fma_f64 v[137:138], v[97:98], s[6:7], v[141:142]
	v_add_f64 v[30:31], v[143:144], v[30:31]
	v_mul_f64 v[143:144], v[113:114], s[48:49]
	v_add_f64 v[34:35], v[137:138], v[34:35]
	v_fma_f64 v[145:146], v[95:96], s[6:7], v[143:144]
	v_fma_f64 v[137:138], v[95:96], s[6:7], -v[143:144]
	v_add_f64 v[28:29], v[145:146], v[28:29]
	v_mul_f64 v[145:146], v[117:118], s[44:45]
	v_add_f64 v[32:33], v[137:138], v[32:33]
	v_fma_f64 v[153:154], v[93:94], s[18:19], -v[145:146]
	v_fma_f64 v[137:138], v[93:94], s[18:19], v[145:146]
	v_add_f64 v[30:31], v[153:154], v[30:31]
	v_mul_f64 v[153:154], v[109:110], s[44:45]
	v_add_f64 v[34:35], v[137:138], v[34:35]
	v_fma_f64 v[155:156], v[91:92], s[18:19], v[153:154]
	;; [unrolled: 10-line block ×4, first 2 shown]
	v_fma_f64 v[137:138], v[67:68], s[20:21], -v[161:162]
	v_add_f64 v[28:29], v[163:164], v[28:29]
	v_mul_f64 v[163:164], v[105:106], s[52:53]
	v_add_f64 v[32:33], v[137:138], v[32:33]
	v_fma_f64 v[165:166], v[129:130], s[14:15], -v[163:164]
	v_fma_f64 v[137:138], v[129:130], s[14:15], v[163:164]
	v_add_f64 v[30:31], v[165:166], v[30:31]
	v_mul_f64 v[165:166], v[131:132], s[52:53]
	v_add_f64 v[34:35], v[137:138], v[34:35]
	v_fma_f64 v[137:138], v[65:66], s[14:15], -v[165:166]
	v_fma_f64 v[167:168], v[65:66], s[14:15], v[165:166]
	v_add_f64 v[137:138], v[137:138], v[32:33]
	v_fma_f64 v[32:33], v[127:128], s[16:17], v[169:170]
	v_add_f64 v[167:168], v[167:168], v[28:29]
	v_fma_f64 v[28:29], v[127:128], s[16:17], -v[169:170]
	v_mul_f64 v[169:170], v[133:134], s[24:25]
	v_add_f64 v[32:33], v[32:33], v[34:35]
	v_add_f64 v[34:35], v[139:140], v[137:138]
	v_mul_f64 v[137:138], v[123:124], s[50:51]
	v_add_f64 v[28:29], v[28:29], v[30:31]
	v_fma_f64 v[30:31], v[125:126], s[16:17], v[171:172]
	v_mul_f64 v[171:172], v[135:136], s[24:25]
	v_fma_f64 v[139:140], v[101:102], s[20:21], -v[137:138]
	v_fma_f64 v[137:138], v[101:102], s[20:21], v[137:138]
	v_add_f64 v[30:31], v[30:31], v[167:168]
	v_add_f64 v[38:39], v[139:140], v[38:39]
	v_mul_f64 v[139:140], v[121:122], s[50:51]
	v_add_f64 v[42:43], v[137:138], v[42:43]
	v_fma_f64 v[141:142], v[99:100], s[20:21], v[139:140]
	v_fma_f64 v[137:138], v[99:100], s[20:21], -v[139:140]
	v_fma_f64 v[139:140], v[125:126], s[14:15], -v[171:172]
	v_add_f64 v[36:37], v[141:142], v[36:37]
	v_mul_f64 v[141:142], v[119:120], s[46:47]
	v_add_f64 v[40:41], v[137:138], v[40:41]
	v_fma_f64 v[143:144], v[97:98], s[16:17], -v[141:142]
	v_fma_f64 v[137:138], v[97:98], s[16:17], v[141:142]
	v_add_f64 v[38:39], v[143:144], v[38:39]
	v_mul_f64 v[143:144], v[113:114], s[46:47]
	v_add_f64 v[42:43], v[137:138], v[42:43]
	v_fma_f64 v[145:146], v[95:96], s[16:17], v[143:144]
	v_fma_f64 v[137:138], v[95:96], s[16:17], -v[143:144]
	v_add_f64 v[36:37], v[145:146], v[36:37]
	v_mul_f64 v[145:146], v[117:118], s[40:41]
	v_add_f64 v[40:41], v[137:138], v[40:41]
	v_fma_f64 v[153:154], v[93:94], s[8:9], -v[145:146]
	v_fma_f64 v[137:138], v[93:94], s[8:9], v[145:146]
	v_add_f64 v[38:39], v[153:154], v[38:39]
	v_mul_f64 v[153:154], v[109:110], s[40:41]
	v_add_f64 v[42:43], v[137:138], v[42:43]
	v_fma_f64 v[155:156], v[91:92], s[8:9], v[153:154]
	;; [unrolled: 10-line block ×4, first 2 shown]
	v_fma_f64 v[137:138], v[67:68], s[4:5], -v[161:162]
	v_add_f64 v[36:37], v[163:164], v[36:37]
	v_mul_f64 v[163:164], v[105:106], s[28:29]
	v_add_f64 v[40:41], v[137:138], v[40:41]
	v_fma_f64 v[165:166], v[129:130], s[18:19], -v[163:164]
	v_fma_f64 v[137:138], v[129:130], s[18:19], v[163:164]
	v_add_f64 v[38:39], v[165:166], v[38:39]
	v_mul_f64 v[165:166], v[131:132], s[28:29]
	v_add_f64 v[42:43], v[137:138], v[42:43]
	v_fma_f64 v[137:138], v[65:66], s[18:19], -v[165:166]
	v_fma_f64 v[167:168], v[65:66], s[18:19], v[165:166]
	v_add_f64 v[137:138], v[137:138], v[40:41]
	v_fma_f64 v[40:41], v[127:128], s[14:15], v[169:170]
	v_add_f64 v[167:168], v[167:168], v[36:37]
	v_fma_f64 v[36:37], v[127:128], s[14:15], -v[169:170]
	v_mul_f64 v[169:170], v[133:134], s[42:43]
	v_add_f64 v[40:41], v[40:41], v[42:43]
	v_add_f64 v[42:43], v[139:140], v[137:138]
	v_mul_f64 v[137:138], v[123:124], s[48:49]
	v_add_f64 v[36:37], v[36:37], v[38:39]
	v_fma_f64 v[38:39], v[125:126], s[14:15], v[171:172]
	v_mul_f64 v[171:172], v[135:136], s[42:43]
	v_fma_f64 v[139:140], v[101:102], s[6:7], -v[137:138]
	v_fma_f64 v[137:138], v[101:102], s[6:7], v[137:138]
	v_add_f64 v[38:39], v[38:39], v[167:168]
	v_add_f64 v[46:47], v[139:140], v[46:47]
	v_mul_f64 v[139:140], v[121:122], s[48:49]
	v_add_f64 v[50:51], v[137:138], v[50:51]
	v_fma_f64 v[141:142], v[99:100], s[6:7], v[139:140]
	v_fma_f64 v[137:138], v[99:100], s[6:7], -v[139:140]
	v_fma_f64 v[139:140], v[125:126], s[8:9], -v[171:172]
	v_add_f64 v[44:45], v[141:142], v[44:45]
	v_mul_f64 v[141:142], v[119:120], s[28:29]
	v_add_f64 v[48:49], v[137:138], v[48:49]
	v_fma_f64 v[143:144], v[97:98], s[18:19], -v[141:142]
	v_fma_f64 v[137:138], v[97:98], s[18:19], v[141:142]
	v_add_f64 v[46:47], v[143:144], v[46:47]
	v_mul_f64 v[143:144], v[113:114], s[28:29]
	v_add_f64 v[50:51], v[137:138], v[50:51]
	v_fma_f64 v[145:146], v[95:96], s[18:19], v[143:144]
	v_fma_f64 v[137:138], v[95:96], s[18:19], -v[143:144]
	v_add_f64 v[44:45], v[145:146], v[44:45]
	v_mul_f64 v[145:146], v[117:118], s[26:27]
	v_add_f64 v[48:49], v[137:138], v[48:49]
	v_fma_f64 v[153:154], v[93:94], s[20:21], -v[145:146]
	v_fma_f64 v[137:138], v[93:94], s[20:21], v[145:146]
	v_add_f64 v[46:47], v[153:154], v[46:47]
	v_mul_f64 v[153:154], v[109:110], s[26:27]
	v_add_f64 v[50:51], v[137:138], v[50:51]
	v_fma_f64 v[155:156], v[91:92], s[20:21], v[153:154]
	;; [unrolled: 10-line block ×4, first 2 shown]
	v_fma_f64 v[137:138], v[67:68], s[16:17], -v[161:162]
	v_add_f64 v[44:45], v[163:164], v[44:45]
	v_mul_f64 v[163:164], v[105:106], s[34:35]
	v_add_f64 v[48:49], v[137:138], v[48:49]
	v_fma_f64 v[165:166], v[129:130], s[30:31], -v[163:164]
	v_fma_f64 v[137:138], v[129:130], s[30:31], v[163:164]
	v_add_f64 v[46:47], v[165:166], v[46:47]
	v_mul_f64 v[165:166], v[131:132], s[34:35]
	v_add_f64 v[50:51], v[137:138], v[50:51]
	v_fma_f64 v[137:138], v[65:66], s[30:31], -v[165:166]
	v_fma_f64 v[167:168], v[65:66], s[30:31], v[165:166]
	v_add_f64 v[137:138], v[137:138], v[48:49]
	v_fma_f64 v[48:49], v[127:128], s[8:9], v[169:170]
	v_add_f64 v[167:168], v[167:168], v[44:45]
	v_fma_f64 v[44:45], v[127:128], s[8:9], -v[169:170]
	v_mul_f64 v[169:170], v[133:134], s[22:23]
	v_mul_f64 v[133:134], v[133:134], s[54:55]
	v_add_f64 v[48:49], v[48:49], v[50:51]
	v_add_f64 v[50:51], v[139:140], v[137:138]
	v_mul_f64 v[137:138], v[123:124], s[42:43]
	v_add_f64 v[44:45], v[44:45], v[46:47]
	v_fma_f64 v[46:47], v[125:126], s[8:9], v[171:172]
	v_mul_f64 v[171:172], v[135:136], s[22:23]
	v_mul_f64 v[123:124], v[123:124], s[44:45]
	v_mul_f64 v[135:136], v[135:136], s[54:55]
	v_fma_f64 v[139:140], v[101:102], s[8:9], -v[137:138]
	v_fma_f64 v[137:138], v[101:102], s[8:9], v[137:138]
	v_add_f64 v[46:47], v[46:47], v[167:168]
	v_add_f64 v[54:55], v[139:140], v[54:55]
	v_mul_f64 v[139:140], v[121:122], s[42:43]
	v_add_f64 v[58:59], v[137:138], v[58:59]
	v_mul_f64 v[121:122], v[121:122], s[44:45]
	v_fma_f64 v[141:142], v[99:100], s[8:9], v[139:140]
	v_fma_f64 v[137:138], v[99:100], s[8:9], -v[139:140]
	v_fma_f64 v[139:140], v[125:126], s[6:7], -v[171:172]
	v_add_f64 v[52:53], v[141:142], v[52:53]
	v_mul_f64 v[141:142], v[119:120], s[36:37]
	v_add_f64 v[56:57], v[137:138], v[56:57]
	v_mul_f64 v[119:120], v[119:120], s[26:27]
	v_fma_f64 v[143:144], v[97:98], s[4:5], -v[141:142]
	v_fma_f64 v[137:138], v[97:98], s[4:5], v[141:142]
	v_add_f64 v[54:55], v[143:144], v[54:55]
	v_mul_f64 v[143:144], v[113:114], s[36:37]
	v_add_f64 v[58:59], v[137:138], v[58:59]
	v_mul_f64 v[113:114], v[113:114], s[26:27]
	v_fma_f64 v[145:146], v[95:96], s[4:5], v[143:144]
	v_fma_f64 v[137:138], v[95:96], s[4:5], -v[143:144]
	v_add_f64 v[52:53], v[145:146], v[52:53]
	v_mul_f64 v[145:146], v[117:118], s[52:53]
	v_add_f64 v[56:57], v[137:138], v[56:57]
	v_mul_f64 v[117:118], v[117:118], s[46:47]
	v_fma_f64 v[153:154], v[93:94], s[14:15], -v[145:146]
	v_fma_f64 v[137:138], v[93:94], s[14:15], v[145:146]
	v_add_f64 v[54:55], v[153:154], v[54:55]
	v_mul_f64 v[153:154], v[109:110], s[52:53]
	v_add_f64 v[58:59], v[137:138], v[58:59]
	v_mul_f64 v[109:110], v[109:110], s[46:47]
	v_fma_f64 v[155:156], v[91:92], s[14:15], v[153:154]
	;; [unrolled: 12-line block ×4, first 2 shown]
	v_fma_f64 v[137:138], v[67:68], s[30:31], -v[161:162]
	v_add_f64 v[52:53], v[163:164], v[52:53]
	v_mul_f64 v[163:164], v[105:106], s[46:47]
	v_add_f64 v[56:57], v[137:138], v[56:57]
	v_mul_f64 v[105:106], v[105:106], s[22:23]
	v_fma_f64 v[165:166], v[129:130], s[16:17], -v[163:164]
	v_fma_f64 v[137:138], v[129:130], s[16:17], v[163:164]
	v_add_f64 v[54:55], v[165:166], v[54:55]
	v_mul_f64 v[165:166], v[131:132], s[46:47]
	v_add_f64 v[58:59], v[137:138], v[58:59]
	v_mul_f64 v[131:132], v[131:132], s[22:23]
	v_fma_f64 v[137:138], v[65:66], s[16:17], -v[165:166]
	v_fma_f64 v[167:168], v[65:66], s[16:17], v[165:166]
	v_add_f64 v[137:138], v[137:138], v[56:57]
	v_fma_f64 v[56:57], v[127:128], s[6:7], v[169:170]
	v_add_f64 v[167:168], v[167:168], v[52:53]
	v_fma_f64 v[52:53], v[127:128], s[6:7], -v[169:170]
	v_add_f64 v[56:57], v[56:57], v[58:59]
	v_add_f64 v[58:59], v[139:140], v[137:138]
	v_fma_f64 v[137:138], v[101:102], s[18:19], -v[123:124]
	v_fma_f64 v[101:102], v[101:102], s[18:19], v[123:124]
	v_add_f64 v[52:53], v[52:53], v[54:55]
	v_fma_f64 v[54:55], v[125:126], s[6:7], v[171:172]
	v_add_f64 v[85:86], v[137:138], v[85:86]
	v_fma_f64 v[137:138], v[99:100], s[18:19], v[121:122]
	v_fma_f64 v[99:100], v[99:100], s[18:19], -v[121:122]
	v_add_f64 v[62:63], v[101:102], v[62:63]
	v_add_f64 v[54:55], v[54:55], v[167:168]
	;; [unrolled: 1-line block ×3, first 2 shown]
	v_fma_f64 v[137:138], v[97:98], s[20:21], -v[119:120]
	v_add_f64 v[60:61], v[99:100], v[60:61]
	v_fma_f64 v[97:98], v[97:98], s[20:21], v[119:120]
	v_add_f64 v[85:86], v[137:138], v[85:86]
	v_fma_f64 v[137:138], v[95:96], s[20:21], v[113:114]
	v_fma_f64 v[95:96], v[95:96], s[20:21], -v[113:114]
	v_add_f64 v[62:63], v[97:98], v[62:63]
	v_add_f64 v[83:84], v[137:138], v[83:84]
	v_fma_f64 v[137:138], v[93:94], s[16:17], -v[117:118]
	v_add_f64 v[60:61], v[95:96], v[60:61]
	v_fma_f64 v[93:94], v[93:94], s[16:17], v[117:118]
	v_add_f64 v[85:86], v[137:138], v[85:86]
	v_fma_f64 v[137:138], v[91:92], s[16:17], v[109:110]
	v_fma_f64 v[91:92], v[91:92], s[16:17], -v[109:110]
	v_add_f64 v[62:63], v[93:94], v[62:63]
	v_add_f64 v[83:84], v[137:138], v[83:84]
	;; [unrolled: 8-line block ×4, first 2 shown]
	v_fma_f64 v[137:138], v[129:130], s[6:7], -v[105:106]
	v_add_f64 v[60:61], v[67:68], v[60:61]
	v_fma_f64 v[67:68], v[129:130], s[6:7], v[105:106]
	v_add_f64 v[85:86], v[137:138], v[85:86]
	v_fma_f64 v[137:138], v[65:66], s[6:7], v[131:132]
	v_fma_f64 v[65:66], v[65:66], s[6:7], -v[131:132]
	v_add_f64 v[62:63], v[67:68], v[62:63]
	v_fma_f64 v[67:68], v[125:126], s[4:5], -v[135:136]
	v_add_f64 v[137:138], v[137:138], v[83:84]
	;; [unrolled: 2-line block ×3, first 2 shown]
	v_fma_f64 v[60:61], v[127:128], s[4:5], v[133:134]
	v_add_f64 v[83:84], v[83:84], v[85:86]
	v_fma_f64 v[85:86], v[125:126], s[4:5], v[135:136]
	v_add_f64 v[60:61], v[60:61], v[62:63]
	v_add_f64 v[62:63], v[67:68], v[65:66]
	v_cndmask_b32_e64 v65, 0, 0x1210, s1
	v_add_nc_u32_e32 v65, 0, v65
	v_add3_u32 v64, v65, v64, v149
	v_add_f64 v[85:86], v[85:86], v[137:138]
	ds_write_b128 v64, v[0:3]
	ds_write_b128 v64, v[8:11] offset:272
	ds_write_b128 v64, v[16:19] offset:544
	;; [unrolled: 1-line block ×16, first 2 shown]
	s_waitcnt lgkmcnt(0)
	s_barrier
	buffer_gl0_inv
	ds_read_b128 v[12:15], v150
	ds_read_b128 v[16:19], v151 offset:544
	ds_read_b128 v[44:47], v151 offset:4624
	;; [unrolled: 1-line block ×15, first 2 shown]
                                        ; implicit-def: $vgpr2_vgpr3
	s_and_saveexec_b32 s1, s0
	s_cbranch_execz .LBB0_22
; %bb.21:
	ds_read_b128 v[4:7], v151 offset:4352
	ds_read_b128 v[0:3], v151 offset:8976
	v_add_nc_u32_e32 v82, 0x110, v74
.LBB0_22:
	s_or_b32 exec_lo, exec_lo, s1
	v_add_co_u32 v75, s1, s12, v78
	v_add_co_ci_u32_e64 v79, s1, s13, v79, s1
	v_add_co_u32 v87, s1, s12, v80
	v_add_co_ci_u32_e64 v88, s1, s13, v81, s1
	;; [unrolled: 2-line block ×4, first 2 shown]
	s_clause 0x1
	global_load_dwordx4 v[78:81], v[78:79], off offset:256
	global_load_dwordx4 v[83:86], v[91:92], off offset:800
	v_add_co_u32 v107, s1, 0x1800, v87
	v_add_co_ci_u32_e64 v108, s1, 0, v88, s1
	s_clause 0x5
	global_load_dwordx4 v[87:90], v[91:92], off offset:1344
	global_load_dwordx4 v[91:94], v[91:92], off offset:1888
	;; [unrolled: 1-line block ×6, first 2 shown]
	v_lshl_add_u32 v75, v148, 4, v152
	s_waitcnt vmcnt(0) lgkmcnt(0)
	s_barrier
	buffer_gl0_inv
	v_mul_f64 v[111:112], v[46:47], v[80:81]
	v_mul_f64 v[80:81], v[44:45], v[80:81]
	;; [unrolled: 1-line block ×16, first 2 shown]
	v_fma_f64 v[44:45], v[44:45], v[78:79], -v[111:112]
	v_fma_f64 v[46:47], v[46:47], v[78:79], v[80:81]
	v_fma_f64 v[78:79], v[40:41], v[83:84], -v[113:114]
	v_fma_f64 v[80:81], v[42:43], v[83:84], v[85:86]
	;; [unrolled: 2-line block ×8, first 2 shown]
	v_add_f64 v[40:41], v[12:13], -v[44:45]
	v_add_f64 v[42:43], v[14:15], -v[46:47]
	;; [unrolled: 1-line block ×16, first 2 shown]
	v_fma_f64 v[12:13], v[12:13], 2.0, -v[40:41]
	v_fma_f64 v[14:15], v[14:15], 2.0, -v[42:43]
	;; [unrolled: 1-line block ×16, first 2 shown]
	ds_write_b128 v151, v[40:43] offset:4624
	ds_write_b128 v75, v[44:47] offset:5168
	;; [unrolled: 1-line block ×7, first 2 shown]
	ds_write_b128 v151, v[12:15]
	ds_write_b128 v151, v[16:19] offset:544
	ds_write_b128 v151, v[20:23] offset:1088
	ds_write_b128 v151, v[24:27] offset:1632
	ds_write_b128 v151, v[28:31] offset:2176
	ds_write_b128 v151, v[32:35] offset:2720
	ds_write_b128 v151, v[36:39] offset:3264
	ds_write_b128 v151, v[8:11] offset:3808
	ds_write_b128 v75, v[68:71] offset:8432
	s_and_saveexec_b32 s1, s0
	s_cbranch_execz .LBB0_24
; %bb.23:
	v_mov_b32_e32 v83, 0
	v_lshlrev_b64 v[8:9], 4, v[82:83]
	v_add_co_u32 v8, s0, s12, v8
	v_add_co_ci_u32_e64 v9, s0, s13, v9, s0
	v_add_co_u32 v8, s0, 0x1000, v8
	v_add_co_ci_u32_e64 v9, s0, 0, v9, s0
	global_load_dwordx4 v[8:11], v[8:9], off offset:256
	s_waitcnt vmcnt(0)
	v_mul_f64 v[12:13], v[0:1], v[10:11]
	v_mul_f64 v[10:11], v[2:3], v[10:11]
	v_fma_f64 v[2:3], v[2:3], v[8:9], v[12:13]
	v_fma_f64 v[0:1], v[0:1], v[8:9], -v[10:11]
	v_add_f64 v[2:3], v[6:7], -v[2:3]
	v_add_f64 v[0:1], v[4:5], -v[0:1]
	v_fma_f64 v[6:7], v[6:7], 2.0, -v[2:3]
	v_fma_f64 v[4:5], v[4:5], 2.0, -v[0:1]
	ds_write_b128 v151, v[4:7] offset:4352
	ds_write_b128 v151, v[0:3] offset:8976
.LBB0_24:
	s_or_b32 exec_lo, exec_lo, s1
	s_waitcnt lgkmcnt(0)
	s_barrier
	buffer_gl0_inv
	s_and_saveexec_b32 s0, vcc_lo
	s_cbranch_execz .LBB0_26
; %bb.25:
	v_mul_lo_u32 v2, s3, v76
	v_mul_lo_u32 v3, s2, v77
	v_mad_u64_u32 v[0:1], null, s2, v76, 0
	v_mov_b32_e32 v75, 0
	v_lshlrev_b64 v[8:9], 4, v[72:73]
	v_lshl_add_u32 v28, v74, 4, v147
	v_add_nc_u32_e32 v10, 34, v74
	v_add_nc_u32_e32 v12, 0x44, v74
	v_lshlrev_b64 v[14:15], 4, v[74:75]
	v_add3_u32 v1, v1, v3, v2
	v_mov_b32_e32 v11, v75
	v_mov_b32_e32 v13, v75
	v_add_nc_u32_e32 v22, 0x66, v74
	v_mov_b32_e32 v23, v75
	v_lshlrev_b64 v[16:17], 4, v[0:1]
	ds_read_b128 v[0:3], v28
	ds_read_b128 v[4:7], v28 offset:544
	v_add_nc_u32_e32 v24, 0x88, v74
	v_mov_b32_e32 v25, v75
	v_lshlrev_b64 v[22:23], 4, v[22:23]
	v_add_co_u32 v18, vcc_lo, s10, v16
	v_add_co_ci_u32_e32 v19, vcc_lo, s11, v17, vcc_lo
	v_lshlrev_b64 v[16:17], 4, v[10:11]
	v_add_co_u32 v30, vcc_lo, v18, v8
	v_add_co_ci_u32_e32 v31, vcc_lo, v19, v9, vcc_lo
	;; [unrolled: 3-line block ×3, first 2 shown]
	ds_read_b128 v[8:11], v28 offset:1088
	ds_read_b128 v[12:15], v28 offset:1632
	v_add_co_u32 v16, vcc_lo, v30, v16
	v_add_co_ci_u32_e32 v17, vcc_lo, v31, v17, vcc_lo
	v_add_co_u32 v18, vcc_lo, v30, v18
	v_add_co_ci_u32_e32 v19, vcc_lo, v31, v19, vcc_lo
	;; [unrolled: 2-line block ×3, first 2 shown]
	s_waitcnt lgkmcnt(3)
	global_store_dwordx4 v[20:21], v[0:3], off
	s_waitcnt lgkmcnt(2)
	global_store_dwordx4 v[16:17], v[4:7], off
	;; [unrolled: 2-line block ×4, first 2 shown]
	v_lshlrev_b64 v[0:1], 4, v[24:25]
	v_add_nc_u32_e32 v8, 0xaa, v74
	v_mov_b32_e32 v9, v75
	v_add_nc_u32_e32 v10, 0xcc, v74
	v_mov_b32_e32 v11, v75
	v_add_nc_u32_e32 v22, 0xee, v74
	v_add_co_u32 v16, vcc_lo, v30, v0
	v_add_co_ci_u32_e32 v17, vcc_lo, v31, v1, vcc_lo
	ds_read_b128 v[0:3], v28 offset:2176
	ds_read_b128 v[4:7], v28 offset:2720
	v_lshlrev_b64 v[18:19], 4, v[8:9]
	v_lshlrev_b64 v[20:21], 4, v[10:11]
	ds_read_b128 v[8:11], v28 offset:3264
	ds_read_b128 v[12:15], v28 offset:3808
	v_mov_b32_e32 v23, v75
	v_add_nc_u32_e32 v24, 0x110, v74
	v_add_co_u32 v18, vcc_lo, v30, v18
	v_lshlrev_b64 v[22:23], 4, v[22:23]
	v_add_co_ci_u32_e32 v19, vcc_lo, v31, v19, vcc_lo
	v_add_co_u32 v20, vcc_lo, v30, v20
	v_add_co_ci_u32_e32 v21, vcc_lo, v31, v21, vcc_lo
	v_add_co_u32 v22, vcc_lo, v30, v22
	v_add_co_ci_u32_e32 v23, vcc_lo, v31, v23, vcc_lo
	s_waitcnt lgkmcnt(3)
	global_store_dwordx4 v[16:17], v[0:3], off
	s_waitcnt lgkmcnt(2)
	global_store_dwordx4 v[18:19], v[4:7], off
	;; [unrolled: 2-line block ×4, first 2 shown]
	v_lshlrev_b64 v[0:1], 4, v[24:25]
	v_add_nc_u32_e32 v8, 0x132, v74
	v_mov_b32_e32 v9, v75
	v_add_nc_u32_e32 v10, 0x154, v74
	v_mov_b32_e32 v11, v75
	v_add_nc_u32_e32 v22, 0x176, v74
	v_add_co_u32 v16, vcc_lo, v30, v0
	v_add_co_ci_u32_e32 v17, vcc_lo, v31, v1, vcc_lo
	ds_read_b128 v[0:3], v28 offset:4352
	ds_read_b128 v[4:7], v28 offset:4896
	v_lshlrev_b64 v[18:19], 4, v[8:9]
	v_lshlrev_b64 v[20:21], 4, v[10:11]
	ds_read_b128 v[8:11], v28 offset:5440
	ds_read_b128 v[12:15], v28 offset:5984
	v_mov_b32_e32 v23, v75
	v_add_nc_u32_e32 v24, 0x198, v74
	v_add_co_u32 v18, vcc_lo, v30, v18
	v_lshlrev_b64 v[22:23], 4, v[22:23]
	v_add_co_ci_u32_e32 v19, vcc_lo, v31, v19, vcc_lo
	v_add_co_u32 v20, vcc_lo, v30, v20
	v_add_co_ci_u32_e32 v21, vcc_lo, v31, v21, vcc_lo
	v_add_co_u32 v22, vcc_lo, v30, v22
	s_waitcnt lgkmcnt(3)
	global_store_dwordx4 v[16:17], v[0:3], off
	s_waitcnt lgkmcnt(2)
	global_store_dwordx4 v[18:19], v[4:7], off
	v_add_nc_u32_e32 v2, 0x1ba, v74
	v_mov_b32_e32 v3, v75
	v_add_co_ci_u32_e32 v23, vcc_lo, v31, v23, vcc_lo
	v_lshlrev_b64 v[0:1], 4, v[24:25]
	s_waitcnt lgkmcnt(1)
	global_store_dwordx4 v[20:21], v[8:11], off
	s_waitcnt lgkmcnt(0)
	global_store_dwordx4 v[22:23], v[12:15], off
	v_lshlrev_b64 v[8:9], 4, v[2:3]
	v_add_nc_u32_e32 v10, 0x1dc, v74
	v_mov_b32_e32 v11, v75
	v_add_co_u32 v20, vcc_lo, v30, v0
	v_add_co_ci_u32_e32 v21, vcc_lo, v31, v1, vcc_lo
	v_add_co_u32 v22, vcc_lo, v30, v8
	ds_read_b128 v[0:3], v28 offset:6528
	ds_read_b128 v[4:7], v28 offset:7072
	v_add_co_ci_u32_e32 v23, vcc_lo, v31, v9, vcc_lo
	v_lshlrev_b64 v[26:27], 4, v[10:11]
	ds_read_b128 v[8:11], v28 offset:7616
	ds_read_b128 v[12:15], v28 offset:8160
	;; [unrolled: 1-line block ×3, first 2 shown]
	v_add_nc_u32_e32 v24, 0x1fe, v74
	v_add_nc_u32_e32 v74, 0x220, v74
	v_add_co_u32 v26, vcc_lo, v30, v26
	v_lshlrev_b64 v[24:25], 4, v[24:25]
	v_lshlrev_b64 v[28:29], 4, v[74:75]
	v_add_co_ci_u32_e32 v27, vcc_lo, v31, v27, vcc_lo
	v_add_co_u32 v24, vcc_lo, v30, v24
	v_add_co_ci_u32_e32 v25, vcc_lo, v31, v25, vcc_lo
	v_add_co_u32 v28, vcc_lo, v30, v28
	v_add_co_ci_u32_e32 v29, vcc_lo, v31, v29, vcc_lo
	s_waitcnt lgkmcnt(4)
	global_store_dwordx4 v[20:21], v[0:3], off
	s_waitcnt lgkmcnt(3)
	global_store_dwordx4 v[22:23], v[4:7], off
	;; [unrolled: 2-line block ×5, first 2 shown]
.LBB0_26:
	s_endpgm
	.section	.rodata,"a",@progbits
	.p2align	6, 0x0
	.amdhsa_kernel fft_rtc_fwd_len578_factors_17_17_2_wgs_238_tpt_34_halfLds_dp_op_CI_CI_unitstride_sbrr_C2R_dirReg
		.amdhsa_group_segment_fixed_size 0
		.amdhsa_private_segment_fixed_size 0
		.amdhsa_kernarg_size 104
		.amdhsa_user_sgpr_count 6
		.amdhsa_user_sgpr_private_segment_buffer 1
		.amdhsa_user_sgpr_dispatch_ptr 0
		.amdhsa_user_sgpr_queue_ptr 0
		.amdhsa_user_sgpr_kernarg_segment_ptr 1
		.amdhsa_user_sgpr_dispatch_id 0
		.amdhsa_user_sgpr_flat_scratch_init 0
		.amdhsa_user_sgpr_private_segment_size 0
		.amdhsa_wavefront_size32 1
		.amdhsa_uses_dynamic_stack 0
		.amdhsa_system_sgpr_private_segment_wavefront_offset 0
		.amdhsa_system_sgpr_workgroup_id_x 1
		.amdhsa_system_sgpr_workgroup_id_y 0
		.amdhsa_system_sgpr_workgroup_id_z 0
		.amdhsa_system_sgpr_workgroup_info 0
		.amdhsa_system_vgpr_workitem_id 0
		.amdhsa_next_free_vgpr 177
		.amdhsa_next_free_sgpr 58
		.amdhsa_reserve_vcc 1
		.amdhsa_reserve_flat_scratch 0
		.amdhsa_float_round_mode_32 0
		.amdhsa_float_round_mode_16_64 0
		.amdhsa_float_denorm_mode_32 3
		.amdhsa_float_denorm_mode_16_64 3
		.amdhsa_dx10_clamp 1
		.amdhsa_ieee_mode 1
		.amdhsa_fp16_overflow 0
		.amdhsa_workgroup_processor_mode 1
		.amdhsa_memory_ordered 1
		.amdhsa_forward_progress 0
		.amdhsa_shared_vgpr_count 0
		.amdhsa_exception_fp_ieee_invalid_op 0
		.amdhsa_exception_fp_denorm_src 0
		.amdhsa_exception_fp_ieee_div_zero 0
		.amdhsa_exception_fp_ieee_overflow 0
		.amdhsa_exception_fp_ieee_underflow 0
		.amdhsa_exception_fp_ieee_inexact 0
		.amdhsa_exception_int_div_zero 0
	.end_amdhsa_kernel
	.text
.Lfunc_end0:
	.size	fft_rtc_fwd_len578_factors_17_17_2_wgs_238_tpt_34_halfLds_dp_op_CI_CI_unitstride_sbrr_C2R_dirReg, .Lfunc_end0-fft_rtc_fwd_len578_factors_17_17_2_wgs_238_tpt_34_halfLds_dp_op_CI_CI_unitstride_sbrr_C2R_dirReg
                                        ; -- End function
	.section	.AMDGPU.csdata,"",@progbits
; Kernel info:
; codeLenInByte = 18704
; NumSgprs: 60
; NumVgprs: 177
; ScratchSize: 0
; MemoryBound: 0
; FloatMode: 240
; IeeeMode: 1
; LDSByteSize: 0 bytes/workgroup (compile time only)
; SGPRBlocks: 7
; VGPRBlocks: 22
; NumSGPRsForWavesPerEU: 60
; NumVGPRsForWavesPerEU: 177
; Occupancy: 5
; WaveLimiterHint : 1
; COMPUTE_PGM_RSRC2:SCRATCH_EN: 0
; COMPUTE_PGM_RSRC2:USER_SGPR: 6
; COMPUTE_PGM_RSRC2:TRAP_HANDLER: 0
; COMPUTE_PGM_RSRC2:TGID_X_EN: 1
; COMPUTE_PGM_RSRC2:TGID_Y_EN: 0
; COMPUTE_PGM_RSRC2:TGID_Z_EN: 0
; COMPUTE_PGM_RSRC2:TIDIG_COMP_CNT: 0
	.text
	.p2alignl 6, 3214868480
	.fill 48, 4, 3214868480
	.type	__hip_cuid_b3061840ac9a6585,@object ; @__hip_cuid_b3061840ac9a6585
	.section	.bss,"aw",@nobits
	.globl	__hip_cuid_b3061840ac9a6585
__hip_cuid_b3061840ac9a6585:
	.byte	0                               ; 0x0
	.size	__hip_cuid_b3061840ac9a6585, 1

	.ident	"AMD clang version 19.0.0git (https://github.com/RadeonOpenCompute/llvm-project roc-6.4.0 25133 c7fe45cf4b819c5991fe208aaa96edf142730f1d)"
	.section	".note.GNU-stack","",@progbits
	.addrsig
	.addrsig_sym __hip_cuid_b3061840ac9a6585
	.amdgpu_metadata
---
amdhsa.kernels:
  - .args:
      - .actual_access:  read_only
        .address_space:  global
        .offset:         0
        .size:           8
        .value_kind:     global_buffer
      - .offset:         8
        .size:           8
        .value_kind:     by_value
      - .actual_access:  read_only
        .address_space:  global
        .offset:         16
        .size:           8
        .value_kind:     global_buffer
      - .actual_access:  read_only
        .address_space:  global
        .offset:         24
        .size:           8
        .value_kind:     global_buffer
      - .actual_access:  read_only
        .address_space:  global
        .offset:         32
        .size:           8
        .value_kind:     global_buffer
      - .offset:         40
        .size:           8
        .value_kind:     by_value
      - .actual_access:  read_only
        .address_space:  global
        .offset:         48
        .size:           8
        .value_kind:     global_buffer
      - .actual_access:  read_only
        .address_space:  global
        .offset:         56
        .size:           8
        .value_kind:     global_buffer
      - .offset:         64
        .size:           4
        .value_kind:     by_value
      - .actual_access:  read_only
        .address_space:  global
        .offset:         72
        .size:           8
        .value_kind:     global_buffer
      - .actual_access:  read_only
        .address_space:  global
        .offset:         80
        .size:           8
        .value_kind:     global_buffer
      - .actual_access:  read_only
        .address_space:  global
        .offset:         88
        .size:           8
        .value_kind:     global_buffer
      - .actual_access:  write_only
        .address_space:  global
        .offset:         96
        .size:           8
        .value_kind:     global_buffer
    .group_segment_fixed_size: 0
    .kernarg_segment_align: 8
    .kernarg_segment_size: 104
    .language:       OpenCL C
    .language_version:
      - 2
      - 0
    .max_flat_workgroup_size: 238
    .name:           fft_rtc_fwd_len578_factors_17_17_2_wgs_238_tpt_34_halfLds_dp_op_CI_CI_unitstride_sbrr_C2R_dirReg
    .private_segment_fixed_size: 0
    .sgpr_count:     60
    .sgpr_spill_count: 0
    .symbol:         fft_rtc_fwd_len578_factors_17_17_2_wgs_238_tpt_34_halfLds_dp_op_CI_CI_unitstride_sbrr_C2R_dirReg.kd
    .uniform_work_group_size: 1
    .uses_dynamic_stack: false
    .vgpr_count:     177
    .vgpr_spill_count: 0
    .wavefront_size: 32
    .workgroup_processor_mode: 1
amdhsa.target:   amdgcn-amd-amdhsa--gfx1030
amdhsa.version:
  - 1
  - 2
...

	.end_amdgpu_metadata
